;; amdgpu-corpus repo=ROCm/rocFFT kind=compiled arch=gfx1201 opt=O3
	.text
	.amdgcn_target "amdgcn-amd-amdhsa--gfx1201"
	.amdhsa_code_object_version 6
	.protected	fft_rtc_fwd_len182_factors_13_2_7_wgs_52_tpt_13_dp_op_CI_CI_unitstride_sbrr_C2R_dirReg ; -- Begin function fft_rtc_fwd_len182_factors_13_2_7_wgs_52_tpt_13_dp_op_CI_CI_unitstride_sbrr_C2R_dirReg
	.globl	fft_rtc_fwd_len182_factors_13_2_7_wgs_52_tpt_13_dp_op_CI_CI_unitstride_sbrr_C2R_dirReg
	.p2align	8
	.type	fft_rtc_fwd_len182_factors_13_2_7_wgs_52_tpt_13_dp_op_CI_CI_unitstride_sbrr_C2R_dirReg,@function
fft_rtc_fwd_len182_factors_13_2_7_wgs_52_tpt_13_dp_op_CI_CI_unitstride_sbrr_C2R_dirReg: ; @fft_rtc_fwd_len182_factors_13_2_7_wgs_52_tpt_13_dp_op_CI_CI_unitstride_sbrr_C2R_dirReg
; %bb.0:
	s_clause 0x2
	s_load_b128 s[8:11], s[0:1], 0x0
	s_load_b128 s[4:7], s[0:1], 0x58
	;; [unrolled: 1-line block ×3, first 2 shown]
	v_mul_u32_u24_e32 v1, 0x13b2, v0
	v_mov_b32_e32 v3, 0
	s_delay_alu instid0(VALU_DEP_2) | instskip(SKIP_2) | instid1(VALU_DEP_4)
	v_lshrrev_b32_e32 v7, 16, v1
	v_mov_b32_e32 v1, 0
	v_mov_b32_e32 v2, 0
	;; [unrolled: 1-line block ×3, first 2 shown]
	s_delay_alu instid0(VALU_DEP_4) | instskip(SKIP_2) | instid1(VALU_DEP_1)
	v_lshl_add_u32 v5, ttmp9, 2, v7
	s_wait_kmcnt 0x0
	v_cmp_lt_u64_e64 s2, s[10:11], 2
	s_and_b32 vcc_lo, exec_lo, s2
	s_cbranch_vccnz .LBB0_8
; %bb.1:
	s_load_b64 s[2:3], s[0:1], 0x10
	v_mov_b32_e32 v1, 0
	v_mov_b32_e32 v2, 0
	s_add_nc_u64 s[16:17], s[14:15], 8
	s_add_nc_u64 s[18:19], s[12:13], 8
	s_mov_b64 s[20:21], 1
	s_delay_alu instid0(VALU_DEP_1)
	v_dual_mov_b32 v81, v2 :: v_dual_mov_b32 v80, v1
	s_wait_kmcnt 0x0
	s_add_nc_u64 s[22:23], s[2:3], 8
	s_mov_b32 s3, 0
.LBB0_2:                                ; =>This Inner Loop Header: Depth=1
	s_load_b64 s[24:25], s[22:23], 0x0
                                        ; implicit-def: $vgpr84_vgpr85
	s_mov_b32 s2, exec_lo
	s_wait_kmcnt 0x0
	v_or_b32_e32 v4, s25, v6
	s_delay_alu instid0(VALU_DEP_1)
	v_cmpx_ne_u64_e32 0, v[3:4]
	s_wait_alu 0xfffe
	s_xor_b32 s26, exec_lo, s2
	s_cbranch_execz .LBB0_4
; %bb.3:                                ;   in Loop: Header=BB0_2 Depth=1
	s_cvt_f32_u32 s2, s24
	s_cvt_f32_u32 s27, s25
	s_sub_nc_u64 s[30:31], 0, s[24:25]
	s_wait_alu 0xfffe
	s_delay_alu instid0(SALU_CYCLE_1) | instskip(SKIP_1) | instid1(SALU_CYCLE_2)
	s_fmamk_f32 s2, s27, 0x4f800000, s2
	s_wait_alu 0xfffe
	v_s_rcp_f32 s2, s2
	s_delay_alu instid0(TRANS32_DEP_1) | instskip(SKIP_1) | instid1(SALU_CYCLE_2)
	s_mul_f32 s2, s2, 0x5f7ffffc
	s_wait_alu 0xfffe
	s_mul_f32 s27, s2, 0x2f800000
	s_wait_alu 0xfffe
	s_delay_alu instid0(SALU_CYCLE_2) | instskip(SKIP_1) | instid1(SALU_CYCLE_2)
	s_trunc_f32 s27, s27
	s_wait_alu 0xfffe
	s_fmamk_f32 s2, s27, 0xcf800000, s2
	s_cvt_u32_f32 s29, s27
	s_wait_alu 0xfffe
	s_delay_alu instid0(SALU_CYCLE_1) | instskip(SKIP_1) | instid1(SALU_CYCLE_2)
	s_cvt_u32_f32 s28, s2
	s_wait_alu 0xfffe
	s_mul_u64 s[34:35], s[30:31], s[28:29]
	s_wait_alu 0xfffe
	s_mul_hi_u32 s37, s28, s35
	s_mul_i32 s36, s28, s35
	s_mul_hi_u32 s2, s28, s34
	s_mul_i32 s33, s29, s34
	s_wait_alu 0xfffe
	s_add_nc_u64 s[36:37], s[2:3], s[36:37]
	s_mul_hi_u32 s27, s29, s34
	s_mul_hi_u32 s38, s29, s35
	s_add_co_u32 s2, s36, s33
	s_wait_alu 0xfffe
	s_add_co_ci_u32 s2, s37, s27
	s_mul_i32 s34, s29, s35
	s_add_co_ci_u32 s35, s38, 0
	s_wait_alu 0xfffe
	s_add_nc_u64 s[34:35], s[2:3], s[34:35]
	s_wait_alu 0xfffe
	v_add_co_u32 v4, s2, s28, s34
	s_delay_alu instid0(VALU_DEP_1) | instskip(SKIP_1) | instid1(VALU_DEP_1)
	s_cmp_lg_u32 s2, 0
	s_add_co_ci_u32 s29, s29, s35
	v_readfirstlane_b32 s28, v4
	s_wait_alu 0xfffe
	s_delay_alu instid0(VALU_DEP_1)
	s_mul_u64 s[30:31], s[30:31], s[28:29]
	s_wait_alu 0xfffe
	s_mul_hi_u32 s35, s28, s31
	s_mul_i32 s34, s28, s31
	s_mul_hi_u32 s2, s28, s30
	s_mul_i32 s33, s29, s30
	s_wait_alu 0xfffe
	s_add_nc_u64 s[34:35], s[2:3], s[34:35]
	s_mul_hi_u32 s27, s29, s30
	s_mul_hi_u32 s28, s29, s31
	s_wait_alu 0xfffe
	s_add_co_u32 s2, s34, s33
	s_add_co_ci_u32 s2, s35, s27
	s_mul_i32 s30, s29, s31
	s_add_co_ci_u32 s31, s28, 0
	s_wait_alu 0xfffe
	s_add_nc_u64 s[30:31], s[2:3], s[30:31]
	s_wait_alu 0xfffe
	v_add_co_u32 v4, s2, v4, s30
	s_delay_alu instid0(VALU_DEP_1) | instskip(SKIP_1) | instid1(VALU_DEP_1)
	s_cmp_lg_u32 s2, 0
	s_add_co_ci_u32 s2, s29, s31
	v_mul_hi_u32 v14, v5, v4
	s_wait_alu 0xfffe
	v_mad_co_u64_u32 v[8:9], null, v5, s2, 0
	v_mad_co_u64_u32 v[10:11], null, v6, v4, 0
	;; [unrolled: 1-line block ×3, first 2 shown]
	s_delay_alu instid0(VALU_DEP_3) | instskip(SKIP_1) | instid1(VALU_DEP_4)
	v_add_co_u32 v4, vcc_lo, v14, v8
	s_wait_alu 0xfffd
	v_add_co_ci_u32_e32 v8, vcc_lo, 0, v9, vcc_lo
	s_delay_alu instid0(VALU_DEP_2) | instskip(SKIP_1) | instid1(VALU_DEP_2)
	v_add_co_u32 v4, vcc_lo, v4, v10
	s_wait_alu 0xfffd
	v_add_co_ci_u32_e32 v4, vcc_lo, v8, v11, vcc_lo
	s_wait_alu 0xfffd
	v_add_co_ci_u32_e32 v8, vcc_lo, 0, v13, vcc_lo
	s_delay_alu instid0(VALU_DEP_2) | instskip(SKIP_1) | instid1(VALU_DEP_2)
	v_add_co_u32 v4, vcc_lo, v4, v12
	s_wait_alu 0xfffd
	v_add_co_ci_u32_e32 v10, vcc_lo, 0, v8, vcc_lo
	s_delay_alu instid0(VALU_DEP_2) | instskip(SKIP_1) | instid1(VALU_DEP_3)
	v_mul_lo_u32 v11, s25, v4
	v_mad_co_u64_u32 v[8:9], null, s24, v4, 0
	v_mul_lo_u32 v12, s24, v10
	s_delay_alu instid0(VALU_DEP_2) | instskip(NEXT) | instid1(VALU_DEP_2)
	v_sub_co_u32 v8, vcc_lo, v5, v8
	v_add3_u32 v9, v9, v12, v11
	s_delay_alu instid0(VALU_DEP_1) | instskip(SKIP_1) | instid1(VALU_DEP_1)
	v_sub_nc_u32_e32 v11, v6, v9
	s_wait_alu 0xfffd
	v_subrev_co_ci_u32_e64 v11, s2, s25, v11, vcc_lo
	v_add_co_u32 v12, s2, v4, 2
	s_wait_alu 0xf1ff
	v_add_co_ci_u32_e64 v13, s2, 0, v10, s2
	v_sub_co_u32 v14, s2, v8, s24
	v_sub_co_ci_u32_e32 v9, vcc_lo, v6, v9, vcc_lo
	s_wait_alu 0xf1ff
	v_subrev_co_ci_u32_e64 v11, s2, 0, v11, s2
	s_delay_alu instid0(VALU_DEP_3) | instskip(NEXT) | instid1(VALU_DEP_3)
	v_cmp_le_u32_e32 vcc_lo, s24, v14
	v_cmp_eq_u32_e64 s2, s25, v9
	s_wait_alu 0xfffd
	v_cndmask_b32_e64 v14, 0, -1, vcc_lo
	v_cmp_le_u32_e32 vcc_lo, s25, v11
	s_wait_alu 0xfffd
	v_cndmask_b32_e64 v15, 0, -1, vcc_lo
	v_cmp_le_u32_e32 vcc_lo, s24, v8
	;; [unrolled: 3-line block ×3, first 2 shown]
	s_wait_alu 0xfffd
	v_cndmask_b32_e64 v16, 0, -1, vcc_lo
	v_cmp_eq_u32_e32 vcc_lo, s25, v11
	s_wait_alu 0xf1ff
	s_delay_alu instid0(VALU_DEP_2)
	v_cndmask_b32_e64 v8, v16, v8, s2
	s_wait_alu 0xfffd
	v_cndmask_b32_e32 v11, v15, v14, vcc_lo
	v_add_co_u32 v14, vcc_lo, v4, 1
	s_wait_alu 0xfffd
	v_add_co_ci_u32_e32 v15, vcc_lo, 0, v10, vcc_lo
	s_delay_alu instid0(VALU_DEP_3) | instskip(SKIP_2) | instid1(VALU_DEP_3)
	v_cmp_ne_u32_e32 vcc_lo, 0, v11
	s_wait_alu 0xfffd
	v_cndmask_b32_e32 v11, v14, v12, vcc_lo
	v_cndmask_b32_e32 v9, v15, v13, vcc_lo
	v_cmp_ne_u32_e32 vcc_lo, 0, v8
	s_wait_alu 0xfffd
	s_delay_alu instid0(VALU_DEP_2)
	v_dual_cndmask_b32 v84, v4, v11 :: v_dual_cndmask_b32 v85, v10, v9
.LBB0_4:                                ;   in Loop: Header=BB0_2 Depth=1
	s_wait_alu 0xfffe
	s_and_not1_saveexec_b32 s2, s26
	s_cbranch_execz .LBB0_6
; %bb.5:                                ;   in Loop: Header=BB0_2 Depth=1
	v_cvt_f32_u32_e32 v4, s24
	s_sub_co_i32 s26, 0, s24
	v_mov_b32_e32 v85, v3
	s_delay_alu instid0(VALU_DEP_2) | instskip(NEXT) | instid1(TRANS32_DEP_1)
	v_rcp_iflag_f32_e32 v4, v4
	v_mul_f32_e32 v4, 0x4f7ffffe, v4
	s_delay_alu instid0(VALU_DEP_1) | instskip(SKIP_1) | instid1(VALU_DEP_1)
	v_cvt_u32_f32_e32 v4, v4
	s_wait_alu 0xfffe
	v_mul_lo_u32 v8, s26, v4
	s_delay_alu instid0(VALU_DEP_1) | instskip(NEXT) | instid1(VALU_DEP_1)
	v_mul_hi_u32 v8, v4, v8
	v_add_nc_u32_e32 v4, v4, v8
	s_delay_alu instid0(VALU_DEP_1) | instskip(NEXT) | instid1(VALU_DEP_1)
	v_mul_hi_u32 v4, v5, v4
	v_mul_lo_u32 v8, v4, s24
	s_delay_alu instid0(VALU_DEP_1) | instskip(NEXT) | instid1(VALU_DEP_1)
	v_sub_nc_u32_e32 v8, v5, v8
	v_subrev_nc_u32_e32 v10, s24, v8
	v_cmp_le_u32_e32 vcc_lo, s24, v8
	s_wait_alu 0xfffd
	s_delay_alu instid0(VALU_DEP_2) | instskip(NEXT) | instid1(VALU_DEP_1)
	v_dual_cndmask_b32 v8, v8, v10 :: v_dual_add_nc_u32 v9, 1, v4
	v_cndmask_b32_e32 v4, v4, v9, vcc_lo
	s_delay_alu instid0(VALU_DEP_2) | instskip(NEXT) | instid1(VALU_DEP_2)
	v_cmp_le_u32_e32 vcc_lo, s24, v8
	v_add_nc_u32_e32 v9, 1, v4
	s_wait_alu 0xfffd
	s_delay_alu instid0(VALU_DEP_1)
	v_cndmask_b32_e32 v84, v4, v9, vcc_lo
.LBB0_6:                                ;   in Loop: Header=BB0_2 Depth=1
	s_wait_alu 0xfffe
	s_or_b32 exec_lo, exec_lo, s2
	v_mul_lo_u32 v4, v85, s24
	s_delay_alu instid0(VALU_DEP_2)
	v_mul_lo_u32 v10, v84, s25
	s_load_b64 s[26:27], s[18:19], 0x0
	v_mad_co_u64_u32 v[8:9], null, v84, s24, 0
	s_load_b64 s[24:25], s[16:17], 0x0
	s_add_nc_u64 s[20:21], s[20:21], 1
	s_add_nc_u64 s[16:17], s[16:17], 8
	s_wait_alu 0xfffe
	v_cmp_ge_u64_e64 s2, s[20:21], s[10:11]
	s_add_nc_u64 s[18:19], s[18:19], 8
	s_add_nc_u64 s[22:23], s[22:23], 8
	v_add3_u32 v4, v9, v10, v4
	v_sub_co_u32 v5, vcc_lo, v5, v8
	s_wait_alu 0xfffd
	s_delay_alu instid0(VALU_DEP_2) | instskip(SKIP_2) | instid1(VALU_DEP_1)
	v_sub_co_ci_u32_e32 v4, vcc_lo, v6, v4, vcc_lo
	s_and_b32 vcc_lo, exec_lo, s2
	s_wait_kmcnt 0x0
	v_mul_lo_u32 v6, s26, v4
	v_mul_lo_u32 v8, s27, v5
	v_mad_co_u64_u32 v[1:2], null, s26, v5, v[1:2]
	v_mul_lo_u32 v4, s24, v4
	v_mul_lo_u32 v9, s25, v5
	v_mad_co_u64_u32 v[80:81], null, s24, v5, v[80:81]
	s_delay_alu instid0(VALU_DEP_4) | instskip(NEXT) | instid1(VALU_DEP_2)
	v_add3_u32 v2, v8, v2, v6
	v_add3_u32 v81, v9, v81, v4
	s_wait_alu 0xfffe
	s_cbranch_vccnz .LBB0_9
; %bb.7:                                ;   in Loop: Header=BB0_2 Depth=1
	v_dual_mov_b32 v5, v84 :: v_dual_mov_b32 v6, v85
	s_branch .LBB0_2
.LBB0_8:
	v_dual_mov_b32 v81, v2 :: v_dual_mov_b32 v80, v1
	v_dual_mov_b32 v85, v6 :: v_dual_mov_b32 v84, v5
.LBB0_9:
	s_load_b64 s[0:1], s[0:1], 0x28
	v_mul_hi_u32 v6, 0x13b13b14, v0
	v_and_b32_e32 v3, 3, v7
	s_lshl_b64 s[10:11], s[10:11], 3
                                        ; implicit-def: $vgpr82
                                        ; implicit-def: $vgpr4_vgpr5
	s_wait_alu 0xfffe
	s_add_nc_u64 s[2:3], s[14:15], s[10:11]
	s_wait_kmcnt 0x0
	v_cmp_gt_u64_e32 vcc_lo, s[0:1], v[84:85]
	v_cmp_le_u64_e64 s0, s[0:1], v[84:85]
	s_delay_alu instid0(VALU_DEP_1)
	s_and_saveexec_b32 s1, s0
	s_wait_alu 0xfffe
	s_xor_b32 s0, exec_lo, s1
; %bb.10:
	v_mul_u32_u24_e32 v1, 13, v6
	v_mov_b32_e32 v83, 0
                                        ; implicit-def: $vgpr6
	s_delay_alu instid0(VALU_DEP_2) | instskip(NEXT) | instid1(VALU_DEP_1)
	v_sub_nc_u32_e32 v82, v0, v1
                                        ; implicit-def: $vgpr0
                                        ; implicit-def: $vgpr1_vgpr2
	v_dual_mov_b32 v4, v82 :: v_dual_mov_b32 v5, v83
; %bb.11:
	s_wait_alu 0xfffe
	s_or_saveexec_b32 s1, s0
	s_load_b64 s[2:3], s[2:3], 0x0
	v_mul_u32_u24_e32 v3, 0xb7, v3
	s_delay_alu instid0(VALU_DEP_1)
	v_lshlrev_b32_e32 v90, 4, v3
	s_xor_b32 exec_lo, exec_lo, s1
	s_cbranch_execz .LBB0_15
; %bb.12:
	s_add_nc_u64 s[10:11], s[12:13], s[10:11]
	v_mul_u32_u24_e32 v6, 13, v6
	s_load_b64 s[10:11], s[10:11], 0x0
	v_lshlrev_b64_e32 v[1:2], 4, v[1:2]
	v_mov_b32_e32 v83, 0
	s_delay_alu instid0(VALU_DEP_3) | instskip(NEXT) | instid1(VALU_DEP_1)
	v_sub_nc_u32_e32 v82, v0, v6
	v_lshlrev_b32_e32 v62, 4, v82
	s_wait_kmcnt 0x0
	v_mul_lo_u32 v7, s11, v84
	v_mul_lo_u32 v8, s10, v85
	v_mad_co_u64_u32 v[4:5], null, s10, v84, 0
	s_delay_alu instid0(VALU_DEP_1) | instskip(NEXT) | instid1(VALU_DEP_1)
	v_add3_u32 v5, v5, v8, v7
	v_lshlrev_b64_e32 v[4:5], 4, v[4:5]
	s_delay_alu instid0(VALU_DEP_1) | instskip(SKIP_1) | instid1(VALU_DEP_2)
	v_add_co_u32 v0, s0, s4, v4
	s_wait_alu 0xf1ff
	v_add_co_ci_u32_e64 v4, s0, s5, v5, s0
	s_mov_b32 s4, exec_lo
	s_delay_alu instid0(VALU_DEP_2) | instskip(SKIP_1) | instid1(VALU_DEP_2)
	v_add_co_u32 v0, s0, v0, v1
	s_wait_alu 0xf1ff
	v_add_co_ci_u32_e64 v1, s0, v4, v2, s0
	v_add3_u32 v2, 0, v90, v62
	s_delay_alu instid0(VALU_DEP_3) | instskip(SKIP_1) | instid1(VALU_DEP_3)
	v_add_co_u32 v4, s0, v0, v62
	s_wait_alu 0xf1ff
	v_add_co_ci_u32_e64 v5, s0, 0, v1, s0
	s_clause 0xd
	global_load_b128 v[6:9], v[4:5], off
	global_load_b128 v[10:13], v[4:5], off offset:208
	global_load_b128 v[14:17], v[4:5], off offset:416
	;; [unrolled: 1-line block ×13, first 2 shown]
	v_dual_mov_b32 v4, v82 :: v_dual_mov_b32 v5, v83
	s_wait_loadcnt 0xd
	ds_store_b128 v2, v[6:9]
	s_wait_loadcnt 0xc
	ds_store_b128 v2, v[10:13] offset:208
	s_wait_loadcnt 0xb
	ds_store_b128 v2, v[14:17] offset:416
	s_wait_loadcnt 0xa
	ds_store_b128 v2, v[18:21] offset:624
	s_wait_loadcnt 0x9
	ds_store_b128 v2, v[22:25] offset:832
	s_wait_loadcnt 0x8
	ds_store_b128 v2, v[26:29] offset:1040
	s_wait_loadcnt 0x7
	ds_store_b128 v2, v[30:33] offset:1248
	s_wait_loadcnt 0x6
	ds_store_b128 v2, v[34:37] offset:1456
	s_wait_loadcnt 0x5
	ds_store_b128 v2, v[38:41] offset:1664
	s_wait_loadcnt 0x4
	ds_store_b128 v2, v[42:45] offset:1872
	s_wait_loadcnt 0x3
	ds_store_b128 v2, v[46:49] offset:2080
	s_wait_loadcnt 0x2
	ds_store_b128 v2, v[50:53] offset:2288
	s_wait_loadcnt 0x1
	ds_store_b128 v2, v[54:57] offset:2496
	s_wait_loadcnt 0x0
	ds_store_b128 v2, v[58:61] offset:2704
	v_cmpx_eq_u32_e32 12, v82
	s_cbranch_execz .LBB0_14
; %bb.13:
	global_load_b128 v[6:9], v[0:1], off offset:2912
	v_mov_b32_e32 v4, 12
	v_dual_mov_b32 v5, 0 :: v_dual_mov_b32 v82, 12
	s_wait_loadcnt 0x0
	ds_store_b128 v2, v[6:9] offset:2720
.LBB0_14:
	s_wait_alu 0xfffe
	s_or_b32 exec_lo, exec_lo, s4
.LBB0_15:
	s_delay_alu instid0(SALU_CYCLE_1)
	s_or_b32 exec_lo, exec_lo, s1
	v_lshl_add_u32 v255, v3, 4, 0
	v_lshlrev_b32_e32 v0, 4, v82
	global_wb scope:SCOPE_SE
	s_wait_dscnt 0x0
	s_wait_kmcnt 0x0
	s_barrier_signal -1
	s_barrier_wait -1
	global_inv scope:SCOPE_SE
	v_add_nc_u32_e32 v29, v255, v0
	v_sub_nc_u32_e32 v10, v255, v0
	v_lshlrev_b64_e32 v[4:5], 4, v[4:5]
	v_cmp_eq_u32_e64 s0, 0, v82
	ds_load_b64 v[6:7], v29
	ds_load_b64 v[8:9], v10 offset:2912
	s_mov_b32 s4, exec_lo
	scratch_store_b64 off, v[4:5], off      ; 8-byte Folded Spill
	s_wait_dscnt 0x0
	v_add_f64_e32 v[0:1], v[6:7], v[8:9]
	v_add_f64_e64 v[2:3], v[6:7], -v[8:9]
	v_cmpx_ne_u32_e32 0, v82
	s_wait_alu 0xfffe
	s_xor_b32 s4, exec_lo, s4
	s_cbranch_execz .LBB0_17
; %bb.16:
	scratch_load_b64 v[0:1], off, off       ; 8-byte Folded Reload
	v_add_f64_e32 v[13:14], v[6:7], v[8:9]
	v_add_f64_e64 v[8:9], v[6:7], -v[8:9]
	s_wait_loadcnt 0x0
	v_add_co_u32 v0, s1, s8, v0
	s_wait_alu 0xf1ff
	v_add_co_ci_u32_e64 v1, s1, s9, v1, s1
	global_load_b128 v[2:5], v[0:1], off offset:2704
	ds_load_b64 v[0:1], v10 offset:2920
	ds_load_b64 v[11:12], v29 offset:8
	s_wait_dscnt 0x0
	v_add_f64_e32 v[6:7], v[0:1], v[11:12]
	v_add_f64_e64 v[0:1], v[11:12], -v[0:1]
	s_wait_loadcnt 0x0
	v_fma_f64 v[11:12], v[8:9], v[4:5], v[13:14]
	v_fma_f64 v[13:14], -v[8:9], v[4:5], v[13:14]
	s_delay_alu instid0(VALU_DEP_3) | instskip(SKIP_1) | instid1(VALU_DEP_4)
	v_fma_f64 v[15:16], v[6:7], v[4:5], -v[0:1]
	v_fma_f64 v[17:18], v[6:7], v[4:5], v[0:1]
	v_fma_f64 v[0:1], -v[6:7], v[2:3], v[11:12]
	s_delay_alu instid0(VALU_DEP_4) | instskip(NEXT) | instid1(VALU_DEP_4)
	v_fma_f64 v[4:5], v[6:7], v[2:3], v[13:14]
	v_fma_f64 v[6:7], v[8:9], v[2:3], v[15:16]
	s_delay_alu instid0(VALU_DEP_4)
	v_fma_f64 v[2:3], v[8:9], v[2:3], v[17:18]
	ds_store_b128 v10, v[4:7] offset:2912
.LBB0_17:
	s_wait_alu 0xfffe
	s_and_not1_saveexec_b32 s1, s4
	s_cbranch_execz .LBB0_19
; %bb.18:
	ds_load_b128 v[4:7], v255 offset:1456
	s_wait_dscnt 0x0
	v_add_f64_e32 v[4:5], v[4:5], v[4:5]
	v_mul_f64_e32 v[6:7], -2.0, v[6:7]
	ds_store_b128 v255, v[4:7] offset:1456
.LBB0_19:
	s_wait_alu 0xfffe
	s_or_b32 exec_lo, exec_lo, s1
	v_mov_b32_e32 v83, 0
	s_add_nc_u64 s[4:5], s[8:9], 0xa90
	s_mov_b32 s10, 0x4267c47c
	s_mov_b32 s22, 0x42a4c3d2
	s_mov_b32 s20, 0x66966769
	v_lshlrev_b64_e32 v[4:5], 4, v[82:83]
	s_mov_b32 s28, 0x2ef20147
	s_mov_b32 s12, 0x24c2f84
	;; [unrolled: 1-line block ×5, first 2 shown]
	s_wait_alu 0xfffe
	v_add_co_u32 v23, s1, s4, v4
	s_wait_alu 0xf1ff
	v_add_co_ci_u32_e64 v24, s1, s5, v5, s1
	s_mov_b32 s4, 0x4bc48dbf
	s_mov_b32 s29, 0xbfedeba7
	;; [unrolled: 1-line block ×3, first 2 shown]
	s_clause 0x1
	global_load_b128 v[4:7], v[23:24], off offset:208
	global_load_b128 v[11:14], v[23:24], off offset:416
	ds_store_b128 v29, v[0:3]
	ds_load_b128 v[0:3], v29 offset:208
	ds_load_b128 v[15:18], v10 offset:2704
	global_load_b128 v[19:22], v[23:24], off offset:624
	s_mov_b32 s5, 0xbfcea1e5
	s_mov_b32 s14, 0xe00740e9
	;; [unrolled: 1-line block ×18, first 2 shown]
	s_wait_dscnt 0x0
	v_add_f64_e32 v[8:9], v[0:1], v[15:16]
	v_add_f64_e32 v[25:26], v[17:18], v[2:3]
	v_add_f64_e64 v[15:16], v[0:1], -v[15:16]
	v_add_f64_e64 v[0:1], v[2:3], -v[17:18]
	s_mov_b32 s38, s20
	s_mov_b32 s36, s10
	;; [unrolled: 1-line block ×5, first 2 shown]
	s_wait_alu 0xfffe
	s_mov_b32 s40, s4
	s_mov_b32 s44, s22
	s_wait_loadcnt 0x2
	s_delay_alu instid0(VALU_DEP_2) | instskip(NEXT) | instid1(VALU_DEP_2)
	v_fma_f64 v[2:3], v[15:16], v[6:7], v[8:9]
	v_fma_f64 v[17:18], v[25:26], v[6:7], v[0:1]
	v_fma_f64 v[8:9], -v[15:16], v[6:7], v[8:9]
	v_fma_f64 v[27:28], v[25:26], v[6:7], -v[0:1]
	s_delay_alu instid0(VALU_DEP_4) | instskip(NEXT) | instid1(VALU_DEP_4)
	v_fma_f64 v[0:1], -v[25:26], v[4:5], v[2:3]
	v_fma_f64 v[2:3], v[15:16], v[4:5], v[17:18]
	s_delay_alu instid0(VALU_DEP_4) | instskip(NEXT) | instid1(VALU_DEP_4)
	v_fma_f64 v[6:7], v[25:26], v[4:5], v[8:9]
	v_fma_f64 v[8:9], v[15:16], v[4:5], v[27:28]
	ds_store_b128 v29, v[0:3] offset:208
	ds_store_b128 v10, v[6:9] offset:2704
	ds_load_b128 v[0:3], v29 offset:416
	ds_load_b128 v[4:7], v10 offset:2496
	global_load_b128 v[15:18], v[23:24], off offset:832
	s_wait_dscnt 0x0
	v_add_f64_e32 v[8:9], v[0:1], v[4:5]
	v_add_f64_e32 v[25:26], v[6:7], v[2:3]
	v_add_f64_e64 v[27:28], v[0:1], -v[4:5]
	v_add_f64_e64 v[0:1], v[2:3], -v[6:7]
	s_wait_loadcnt 0x2
	s_delay_alu instid0(VALU_DEP_2) | instskip(NEXT) | instid1(VALU_DEP_2)
	v_fma_f64 v[2:3], v[27:28], v[13:14], v[8:9]
	v_fma_f64 v[4:5], v[25:26], v[13:14], v[0:1]
	v_fma_f64 v[6:7], -v[27:28], v[13:14], v[8:9]
	v_fma_f64 v[8:9], v[25:26], v[13:14], -v[0:1]
	s_delay_alu instid0(VALU_DEP_4) | instskip(NEXT) | instid1(VALU_DEP_4)
	v_fma_f64 v[0:1], -v[25:26], v[11:12], v[2:3]
	v_fma_f64 v[2:3], v[27:28], v[11:12], v[4:5]
	s_delay_alu instid0(VALU_DEP_4) | instskip(NEXT) | instid1(VALU_DEP_4)
	v_fma_f64 v[4:5], v[25:26], v[11:12], v[6:7]
	v_fma_f64 v[6:7], v[27:28], v[11:12], v[8:9]
	ds_store_b128 v29, v[0:3] offset:416
	ds_store_b128 v10, v[4:7] offset:2496
	ds_load_b128 v[0:3], v29 offset:624
	ds_load_b128 v[4:7], v10 offset:2288
	global_load_b128 v[11:14], v[23:24], off offset:1040
	s_wait_dscnt 0x0
	v_add_f64_e32 v[8:9], v[0:1], v[4:5]
	v_add_f64_e32 v[25:26], v[6:7], v[2:3]
	v_add_f64_e64 v[27:28], v[0:1], -v[4:5]
	v_add_f64_e64 v[0:1], v[2:3], -v[6:7]
	;; [unrolled: 22-line block ×3, first 2 shown]
	s_wait_loadcnt 0x2
	s_delay_alu instid0(VALU_DEP_2) | instskip(NEXT) | instid1(VALU_DEP_2)
	v_fma_f64 v[2:3], v[25:26], v[17:18], v[8:9]
	v_fma_f64 v[4:5], v[23:24], v[17:18], v[0:1]
	v_fma_f64 v[6:7], -v[25:26], v[17:18], v[8:9]
	v_fma_f64 v[8:9], v[23:24], v[17:18], -v[0:1]
	s_delay_alu instid0(VALU_DEP_4) | instskip(NEXT) | instid1(VALU_DEP_4)
	v_fma_f64 v[0:1], -v[23:24], v[15:16], v[2:3]
	v_fma_f64 v[2:3], v[25:26], v[15:16], v[4:5]
	s_delay_alu instid0(VALU_DEP_4) | instskip(NEXT) | instid1(VALU_DEP_4)
	v_fma_f64 v[4:5], v[23:24], v[15:16], v[6:7]
	v_fma_f64 v[6:7], v[25:26], v[15:16], v[8:9]
	ds_store_b128 v29, v[0:3] offset:832
	ds_store_b128 v10, v[4:7] offset:2080
	ds_load_b128 v[0:3], v29 offset:1040
	ds_load_b128 v[4:7], v10 offset:1872
	s_wait_dscnt 0x0
	v_add_f64_e32 v[8:9], v[0:1], v[4:5]
	v_add_f64_e32 v[15:16], v[6:7], v[2:3]
	v_add_f64_e64 v[17:18], v[0:1], -v[4:5]
	v_add_f64_e64 v[0:1], v[2:3], -v[6:7]
	s_wait_loadcnt 0x1
	s_delay_alu instid0(VALU_DEP_2) | instskip(NEXT) | instid1(VALU_DEP_2)
	v_fma_f64 v[2:3], v[17:18], v[13:14], v[8:9]
	v_fma_f64 v[4:5], v[15:16], v[13:14], v[0:1]
	v_fma_f64 v[6:7], -v[17:18], v[13:14], v[8:9]
	v_fma_f64 v[8:9], v[15:16], v[13:14], -v[0:1]
	s_delay_alu instid0(VALU_DEP_4) | instskip(NEXT) | instid1(VALU_DEP_4)
	v_fma_f64 v[0:1], -v[15:16], v[11:12], v[2:3]
	v_fma_f64 v[2:3], v[17:18], v[11:12], v[4:5]
	s_delay_alu instid0(VALU_DEP_4) | instskip(NEXT) | instid1(VALU_DEP_4)
	v_fma_f64 v[4:5], v[15:16], v[11:12], v[6:7]
	v_fma_f64 v[6:7], v[17:18], v[11:12], v[8:9]
	ds_store_b128 v29, v[0:3] offset:1040
	ds_store_b128 v10, v[4:7] offset:1872
	ds_load_b128 v[0:3], v29 offset:1248
	ds_load_b128 v[4:7], v10 offset:1664
	s_wait_dscnt 0x0
	v_add_f64_e32 v[8:9], v[0:1], v[4:5]
	v_add_f64_e32 v[11:12], v[6:7], v[2:3]
	v_add_f64_e64 v[13:14], v[0:1], -v[4:5]
	v_add_f64_e64 v[0:1], v[2:3], -v[6:7]
	s_wait_loadcnt 0x0
	s_delay_alu instid0(VALU_DEP_2) | instskip(NEXT) | instid1(VALU_DEP_2)
	v_fma_f64 v[2:3], v[13:14], v[21:22], v[8:9]
	v_fma_f64 v[4:5], v[11:12], v[21:22], v[0:1]
	v_fma_f64 v[6:7], -v[13:14], v[21:22], v[8:9]
	v_fma_f64 v[8:9], v[11:12], v[21:22], -v[0:1]
	s_delay_alu instid0(VALU_DEP_4) | instskip(NEXT) | instid1(VALU_DEP_4)
	v_fma_f64 v[0:1], -v[11:12], v[19:20], v[2:3]
	v_fma_f64 v[2:3], v[13:14], v[19:20], v[4:5]
	s_delay_alu instid0(VALU_DEP_4) | instskip(NEXT) | instid1(VALU_DEP_4)
	v_fma_f64 v[4:5], v[11:12], v[19:20], v[6:7]
	v_fma_f64 v[6:7], v[13:14], v[19:20], v[8:9]
	v_lshl_add_u32 v8, v82, 4, 0
	ds_store_b128 v29, v[0:3] offset:1248
	ds_store_b128 v10, v[4:7] offset:1664
	v_add_nc_u32_e32 v83, v8, v90
	global_wb scope:SCOPE_SE
	s_wait_storecnt_dscnt 0x0
	s_barrier_signal -1
	s_barrier_wait -1
	global_inv scope:SCOPE_SE
	global_wb scope:SCOPE_SE
	s_barrier_signal -1
	s_barrier_wait -1
	global_inv scope:SCOPE_SE
	scratch_store_b32 off, v29, off offset:8 ; 4-byte Folded Spill
	ds_load_b128 v[56:59], v83 offset:224
	ds_load_b128 v[52:55], v29
	ds_load_b128 v[0:3], v83 offset:208
	ds_load_b128 v[4:7], v83 offset:432
	s_wait_dscnt 0x0
	scratch_store_b128 off, v[4:7], off offset:28 ; 16-byte Folded Spill
	v_add_f64_e32 v[4:5], v[52:53], v[56:57]
	v_add_f64_e32 v[6:7], v[54:55], v[58:59]
	ds_load_b128 v[64:67], v83 offset:448
	ds_load_b128 v[8:11], v83 offset:656
	s_wait_dscnt 0x0
	scratch_store_b128 off, v[8:11], off offset:44 ; 16-byte Folded Spill
	v_add_f64_e32 v[16:17], v[4:5], v[64:65]
	v_add_f64_e32 v[18:19], v[6:7], v[66:67]
	ds_load_b128 v[68:71], v83 offset:672
	ds_load_b128 v[4:7], v83 offset:880
	;; [unrolled: 1-line block ×7, first 2 shown]
	s_wait_dscnt 0x5
	scratch_store_b128 off, v[4:7], off offset:12 ; 16-byte Folded Spill
	ds_load_b128 v[4:7], v83 offset:1104
	s_wait_dscnt 0x3
	v_add_f64_e64 v[127:128], v[70:71], -v[97:98]
	s_wait_dscnt 0x2
	v_add_f64_e64 v[115:116], v[58:59], -v[62:63]
	v_add_f64_e64 v[117:118], v[56:57], -v[60:61]
	s_wait_dscnt 0x1
	v_add_f64_e64 v[123:124], v[66:67], -v[78:79]
	v_add_f64_e64 v[125:126], v[64:65], -v[76:77]
	;; [unrolled: 1-line block ×3, first 2 shown]
	v_add_f64_e32 v[56:57], v[56:57], v[60:61]
	v_add_f64_e32 v[58:59], v[58:59], v[62:63]
	;; [unrolled: 1-line block ×8, first 2 shown]
	s_wait_dscnt 0x0
	scratch_store_b128 off, v[4:7], off offset:108 ; 16-byte Folded Spill
	ds_load_b128 v[99:102], v83 offset:1792
	ds_load_b128 v[4:7], v83 offset:2896
	;; [unrolled: 1-line block ×3, first 2 shown]
	s_wait_dscnt 0x2
	v_add_f64_e32 v[131:132], v[91:92], v[99:100]
	s_wait_dscnt 0x1
	scratch_store_b128 off, v[4:7], off offset:60 ; 16-byte Folded Spill
	ds_load_b128 v[107:110], v83 offset:1344
	ds_load_b128 v[111:114], v83 offset:1568
	v_mul_f64_e32 v[147:148], s[10:11], v[115:116]
	v_mul_f64_e32 v[149:150], s[22:23], v[115:116]
	;; [unrolled: 1-line block ×10, first 2 shown]
	v_add_f64_e32 v[20:21], v[16:17], v[72:73]
	v_add_f64_e32 v[22:23], v[18:19], v[74:75]
	v_mul_f64_e32 v[165:166], s[12:13], v[117:118]
	v_mul_f64_e32 v[117:118], s[4:5], v[117:118]
	v_add_f64_e32 v[133:134], v[93:94], v[101:102]
	s_wait_dscnt 0x2
	v_add_f64_e64 v[135:136], v[74:75], -v[105:106]
	v_mul_f64_e32 v[167:168], s[20:21], v[127:128]
	v_mul_f64_e32 v[169:170], s[20:21], v[129:130]
	;; [unrolled: 1-line block ×3, first 2 shown]
	s_wait_dscnt 0x0
	v_add_f64_e32 v[137:138], v[107:108], v[111:112]
	v_add_f64_e32 v[139:140], v[109:110], v[113:114]
	v_add_f64_e64 v[141:142], v[107:108], -v[111:112]
	v_add_f64_e64 v[143:144], v[109:110], -v[113:114]
	v_mul_f64_e32 v[173:174], s[28:29], v[125:126]
	v_mul_f64_e32 v[175:176], s[4:5], v[127:128]
	;; [unrolled: 1-line block ×17, first 2 shown]
	v_fma_f64 v[211:212], v[56:57], s[14:15], -v[147:148]
	v_fma_f64 v[147:148], v[56:57], s[14:15], v[147:148]
	v_fma_f64 v[213:214], v[56:57], s[26:27], -v[149:150]
	v_fma_f64 v[149:150], v[56:57], s[26:27], v[149:150]
	;; [unrolled: 2-line block ×4, first 2 shown]
	v_add_f64_e32 v[119:120], v[20:21], v[91:92]
	v_add_f64_e32 v[121:122], v[22:23], v[93:94]
	v_add_f64_e64 v[91:92], v[91:92], -v[99:100]
	v_add_f64_e64 v[93:94], v[93:94], -v[101:102]
	v_fma_f64 v[159:160], v[58:59], s[26:27], -v[159:160]
	v_fma_f64 v[221:222], v[58:59], s[24:25], v[161:162]
	v_fma_f64 v[161:162], v[58:59], s[24:25], -v[161:162]
	v_fma_f64 v[223:224], v[58:59], s[30:31], v[163:164]
	v_fma_f64 v[163:164], v[58:59], s[30:31], -v[163:164]
	v_fma_f64 v[225:226], v[58:59], s[18:19], v[165:166]
	v_fma_f64 v[165:166], v[58:59], s[18:19], -v[165:166]
	v_fma_f64 v[227:228], v[58:59], s[16:17], v[117:118]
	ds_load_b128 v[48:51], v83 offset:1328
	ds_load_b128 v[44:47], v83 offset:1552
	;; [unrolled: 1-line block ×4, first 2 shown]
	v_add_f64_e32 v[145:146], v[72:73], v[103:104]
	v_add_f64_e32 v[74:75], v[74:75], v[105:106]
	v_add_f64_e64 v[72:73], v[72:73], -v[103:104]
	v_mul_f64_e32 v[179:180], s[34:35], v[135:136]
	v_mul_f64_e32 v[189:190], s[36:37], v[135:136]
	;; [unrolled: 1-line block ×4, first 2 shown]
	v_fma_f64 v[231:232], v[68:69], s[24:25], -v[167:168]
	v_fma_f64 v[233:234], v[70:71], s[24:25], v[169:170]
	v_fma_f64 v[235:236], v[64:65], s[30:31], -v[171:172]
	v_fma_f64 v[237:238], v[66:67], s[30:31], v[173:174]
	;; [unrolled: 2-line block ×3, first 2 shown]
	v_fma_f64 v[171:172], v[64:65], s[30:31], v[171:172]
	v_fma_f64 v[173:174], v[66:67], s[30:31], -v[173:174]
	v_fma_f64 v[175:176], v[68:69], s[16:17], v[175:176]
	v_fma_f64 v[177:178], v[70:71], s[16:17], -v[177:178]
	v_fma_f64 v[243:244], v[64:65], s[16:17], -v[181:182]
	v_fma_f64 v[245:246], v[66:67], s[16:17], v[183:184]
	s_wait_dscnt 0x0
	scratch_store_b128 off, v[4:7], off offset:92 ; 16-byte Folded Spill
	ds_load_b128 v[4:7], v83 offset:2672
	v_fma_f64 v[247:248], v[68:69], s[30:31], -v[185:186]
	v_fma_f64 v[249:250], v[70:71], s[30:31], v[187:188]
	v_fma_f64 v[181:182], v[64:65], s[16:17], v[181:182]
	v_fma_f64 v[183:184], v[66:67], s[16:17], -v[183:184]
	v_add_f64_e32 v[107:108], v[119:120], v[107:108]
	v_add_f64_e32 v[109:110], v[121:122], v[109:110]
	v_mul_f64_e32 v[119:120], s[22:23], v[123:124]
	v_mul_f64_e32 v[121:122], s[22:23], v[125:126]
	;; [unrolled: 1-line block ×4, first 2 shown]
	v_fma_f64 v[185:186], v[68:69], s[30:31], v[185:186]
	v_fma_f64 v[251:252], v[68:69], s[14:15], -v[195:196]
	v_fma_f64 v[253:254], v[70:71], s[14:15], v[197:198]
	v_fma_f64 v[195:196], v[68:69], s[14:15], v[195:196]
	v_fma_f64 v[197:198], v[70:71], s[14:15], -v[197:198]
	v_fma_f64 v[86:87], v[64:65], s[24:25], -v[201:202]
	v_add_f64_e32 v[211:212], v[52:53], v[211:212]
	v_add_f64_e32 v[147:148], v[52:53], v[147:148]
	;; [unrolled: 1-line block ×16, first 2 shown]
	s_wait_dscnt 0x0
	scratch_store_b128 off, v[4:7], off offset:76 ; 16-byte Folded Spill
	ds_load_b128 v[36:39], v83 offset:2000
	ds_load_b128 v[4:7], v83 offset:2224
	v_fma_f64 v[8:9], v[145:146], s[24:25], -v[199:200]
	v_fma_f64 v[10:11], v[145:146], s[24:25], v[199:200]
	v_fma_f64 v[199:200], v[145:146], s[16:17], -v[209:210]
	v_fma_f64 v[209:210], v[145:146], s[16:17], v[209:210]
	v_mul_f64_e32 v[88:89], s[36:37], v[72:73]
	v_mul_f64_e32 v[16:17], s[20:21], v[72:73]
	;; [unrolled: 1-line block ×4, first 2 shown]
	v_add_f64_e32 v[107:108], v[107:108], v[111:112]
	v_add_f64_e32 v[109:110], v[109:110], v[113:114]
	v_fma_f64 v[111:112], v[56:57], s[30:31], v[153:154]
	v_fma_f64 v[113:114], v[56:57], s[18:19], -v[155:156]
	v_fma_f64 v[153:154], v[56:57], s[18:19], v[155:156]
	v_fma_f64 v[155:156], v[56:57], s[16:17], -v[115:116]
	v_fma_f64 v[56:57], v[56:57], s[16:17], v[115:116]
	v_fma_f64 v[115:116], v[58:59], s[14:15], v[157:158]
	v_fma_f64 v[157:158], v[58:59], s[14:15], -v[157:158]
	v_fma_f64 v[58:59], v[58:59], s[16:17], -v[117:118]
	;; [unrolled: 1-line block ×3, first 2 shown]
	v_fma_f64 v[229:230], v[66:67], s[26:27], v[121:122]
	s_wait_dscnt 0x0
	scratch_store_b128 off, v[4:7], off offset:124 ; 16-byte Folded Spill
	v_fma_f64 v[4:5], v[145:146], s[18:19], -v[179:180]
	v_fma_f64 v[6:7], v[145:146], s[18:19], v[179:180]
	v_fma_f64 v[179:180], v[145:146], s[14:15], -v[189:190]
	v_fma_f64 v[189:190], v[145:146], s[14:15], v[189:190]
	v_mul_f64_e32 v[22:23], s[28:29], v[72:73]
	v_add_f64_e32 v[149:150], v[171:172], v[149:150]
	v_add_f64_e32 v[171:172], v[243:244], v[215:216]
	v_add_f64_e32 v[151:152], v[181:182], v[151:152]
	v_mul_f64_e32 v[181:182], s[38:39], v[93:94]
	v_mul_f64_e32 v[215:216], s[36:37], v[93:94]
	v_add_f64_e32 v[159:160], v[173:174], v[159:160]
	v_add_f64_e32 v[173:174], v[245:246], v[221:222]
	global_wb scope:SCOPE_SE
	s_wait_storecnt 0x0
	s_barrier_signal -1
	s_barrier_wait -1
	global_inv scope:SCOPE_SE
	v_fma_f64 v[24:25], v[74:75], s[14:15], v[88:89]
	v_fma_f64 v[26:27], v[74:75], s[14:15], -v[88:89]
	v_fma_f64 v[88:89], v[74:75], s[24:25], v[16:17]
	v_fma_f64 v[16:17], v[74:75], s[24:25], -v[16:17]
	v_add_f64_e32 v[99:100], v[107:108], v[99:100]
	v_add_f64_e32 v[101:102], v[109:110], v[101:102]
	v_fma_f64 v[107:108], v[70:71], s[30:31], -v[187:188]
	v_fma_f64 v[109:110], v[64:65], s[18:19], -v[191:192]
	v_fma_f64 v[187:188], v[66:67], s[18:19], v[193:194]
	v_fma_f64 v[191:192], v[64:65], s[18:19], v[191:192]
	v_fma_f64 v[193:194], v[66:67], s[18:19], -v[193:194]
	v_add_f64_e32 v[115:116], v[54:55], v[115:116]
	v_add_f64_e32 v[157:158], v[54:55], v[157:158]
	;; [unrolled: 1-line block ×8, first 2 shown]
	v_fma_f64 v[56:57], v[66:67], s[24:25], v[203:204]
	v_fma_f64 v[58:59], v[68:69], s[26:27], -v[205:206]
	v_fma_f64 v[28:29], v[74:75], s[16:17], v[18:19]
	v_fma_f64 v[18:19], v[74:75], s[16:17], -v[18:19]
	;; [unrolled: 2-line block ×4, first 2 shown]
	v_add_f64_e32 v[34:35], v[117:118], v[211:212]
	v_add_f64_e32 v[117:118], v[237:238], v[219:220]
	v_mul_f64_e32 v[211:212], s[22:23], v[93:94]
	v_mul_f64_e32 v[219:220], s[28:29], v[93:94]
	v_fma_f64 v[221:222], v[131:132], s[24:25], -v[181:182]
	v_fma_f64 v[181:182], v[131:132], s[24:25], v[181:182]
	v_fma_f64 v[237:238], v[131:132], s[14:15], -v[215:216]
	v_fma_f64 v[215:216], v[131:132], s[14:15], v[215:216]
	v_add_f64_e32 v[173:174], v[249:250], v[173:174]
	v_add_f64_e32 v[149:150], v[175:176], v[149:150]
	v_mul_f64_e32 v[175:176], s[36:37], v[91:92]
	v_add_f64_e32 v[151:152], v[185:186], v[151:152]
	v_mul_f64_e32 v[185:186], s[12:13], v[141:142]
	v_add_f64_e32 v[99:100], v[99:100], v[103:104]
	v_add_f64_e32 v[101:102], v[101:102], v[105:106]
	v_fma_f64 v[103:104], v[70:71], s[26:27], v[207:208]
	v_fma_f64 v[105:106], v[64:65], s[24:25], v[201:202]
	v_fma_f64 v[201:202], v[66:67], s[24:25], -v[203:204]
	v_fma_f64 v[203:204], v[68:69], s[26:27], v[205:206]
	v_fma_f64 v[205:206], v[70:71], s[26:27], -v[207:208]
	v_fma_f64 v[207:208], v[64:65], s[14:15], -v[123:124]
	v_fma_f64 v[123:124], v[64:65], s[14:15], v[123:124]
	v_fma_f64 v[64:65], v[64:65], s[26:27], v[119:120]
	;; [unrolled: 1-line block ×3, first 2 shown]
	v_fma_f64 v[125:126], v[66:67], s[14:15], -v[125:126]
	v_fma_f64 v[66:67], v[66:67], s[26:27], -v[121:122]
	;; [unrolled: 1-line block ×3, first 2 shown]
	v_fma_f64 v[127:128], v[68:69], s[18:19], v[127:128]
	v_fma_f64 v[68:69], v[68:69], s[24:25], v[167:168]
	v_fma_f64 v[167:168], v[70:71], s[18:19], v[129:130]
	v_fma_f64 v[129:130], v[70:71], s[18:19], -v[129:130]
	v_fma_f64 v[70:71], v[70:71], s[24:25], -v[169:170]
	v_mul_f64_e32 v[169:170], s[44:45], v[135:136]
	v_mul_f64_e32 v[135:136], s[28:29], v[135:136]
	v_add_f64_e32 v[109:110], v[109:110], v[217:218]
	v_add_f64_e32 v[111:112], v[191:192], v[111:112]
	;; [unrolled: 1-line block ×5, first 2 shown]
	v_fma_f64 v[243:244], v[131:132], s[30:31], -v[219:220]
	v_fma_f64 v[219:220], v[131:132], s[30:31], v[219:220]
	v_add_f64_e32 v[117:118], v[241:242], v[117:118]
	v_add_f64_e32 v[34:35], v[231:232], v[34:35]
	v_mul_f64_e32 v[191:192], s[44:45], v[141:142]
	v_add_f64_e32 v[24:25], v[24:25], v[173:174]
	v_add_f64_e32 v[6:7], v[6:7], v[149:150]
	;; [unrolled: 1-line block ×6, first 2 shown]
	v_mul_f64_e32 v[171:172], s[40:41], v[91:92]
	v_add_f64_e32 v[153:154], v[207:208], v[155:156]
	v_add_f64_e32 v[52:53], v[123:124], v[52:53]
	;; [unrolled: 1-line block ×6, first 2 shown]
	v_mul_f64_e32 v[155:156], s[38:39], v[91:92]
	v_add_f64_e32 v[157:158], v[177:178], v[159:160]
	v_mul_f64_e32 v[159:160], s[22:23], v[91:92]
	v_mul_f64_e32 v[123:124], s[12:13], v[91:92]
	;; [unrolled: 1-line block ×4, first 2 shown]
	v_fma_f64 v[12:13], v[145:146], s[26:27], -v[169:170]
	v_fma_f64 v[14:15], v[145:146], s[26:27], v[169:170]
	v_fma_f64 v[169:170], v[145:146], s[30:31], -v[135:136]
	v_fma_f64 v[135:136], v[145:146], s[30:31], v[135:136]
	v_mul_f64_e32 v[145:146], s[34:35], v[72:73]
	v_add_f64_e32 v[109:110], v[251:252], v[109:110]
	v_add_f64_e32 v[111:112], v[195:196], v[111:112]
	;; [unrolled: 1-line block ×5, first 2 shown]
	v_mul_f64_e32 v[86:87], s[28:29], v[143:144]
	v_mul_f64_e32 v[103:104], s[28:29], v[141:142]
	;; [unrolled: 1-line block ×4, first 2 shown]
	v_fma_f64 v[149:150], v[139:140], s[26:27], v[191:192]
	v_add_f64_e32 v[6:7], v[181:182], v[6:7]
	v_add_f64_e32 v[105:106], v[203:204], v[105:106]
	;; [unrolled: 1-line block ×9, first 2 shown]
	v_fma_f64 v[167:168], v[133:134], s[24:25], v[155:156]
	v_fma_f64 v[129:130], v[133:134], s[16:17], v[171:172]
	;; [unrolled: 1-line block ×5, first 2 shown]
	v_fma_f64 v[91:92], v[133:134], s[30:31], -v[91:92]
	v_fma_f64 v[175:176], v[133:134], s[14:15], -v[175:176]
	;; [unrolled: 1-line block ×5, first 2 shown]
	v_fma_f64 v[72:73], v[74:75], s[18:19], v[145:146]
	v_fma_f64 v[145:146], v[74:75], s[18:19], -v[145:146]
	v_add_f64_e32 v[74:75], v[229:230], v[115:116]
	v_add_f64_e32 v[115:116], v[235:236], v[213:214]
	v_mul_f64_e32 v[213:214], s[40:41], v[93:94]
	v_mul_f64_e32 v[93:94], s[12:13], v[93:94]
	v_fma_f64 v[229:230], v[131:132], s[26:27], -v[211:212]
	v_fma_f64 v[211:212], v[131:132], s[26:27], v[211:212]
	v_add_f64_e32 v[8:9], v[8:9], v[109:110]
	v_add_f64_e32 v[10:11], v[10:11], v[111:112]
	;; [unrolled: 1-line block ×5, first 2 shown]
	v_fma_f64 v[193:194], v[133:134], s[18:19], v[123:124]
	v_add_f64_e32 v[34:35], v[169:170], v[34:35]
	v_fma_f64 v[123:124], v[133:134], s[18:19], -v[123:124]
	v_fma_f64 v[133:134], v[137:138], s[14:15], -v[177:178]
	;; [unrolled: 1-line block ×3, first 2 shown]
	v_add_f64_e32 v[56:57], v[209:210], v[105:106]
	v_add_f64_e32 v[18:19], v[18:19], v[113:114]
	v_fma_f64 v[195:196], v[137:138], s[16:17], -v[125:126]
	v_fma_f64 v[113:114], v[137:138], s[16:17], v[125:126]
	v_add_f64_e32 v[12:13], v[12:13], v[121:122]
	v_add_f64_e32 v[14:15], v[14:15], v[52:53]
	;; [unrolled: 1-line block ×9, first 2 shown]
	v_fma_f64 v[97:98], v[137:138], s[30:31], -v[86:87]
	v_fma_f64 v[99:100], v[139:140], s[30:31], v[103:104]
	v_fma_f64 v[101:102], v[139:140], s[30:31], -v[103:104]
	v_fma_f64 v[86:87], v[137:138], s[30:31], v[86:87]
	v_fma_f64 v[177:178], v[137:138], s[14:15], v[177:178]
	;; [unrolled: 1-line block ×3, first 2 shown]
	v_fma_f64 v[119:120], v[139:140], s[16:17], -v[147:148]
	v_add_f64_e32 v[72:73], v[72:73], v[117:118]
	v_add_f64_e32 v[145:146], v[145:146], v[157:158]
	;; [unrolled: 1-line block ×4, first 2 shown]
	v_fma_f64 v[235:236], v[131:132], s[16:17], -v[213:214]
	v_fma_f64 v[213:214], v[131:132], s[16:17], v[213:214]
	v_fma_f64 v[245:246], v[131:132], s[18:19], -v[93:94]
	v_fma_f64 v[93:94], v[131:132], s[18:19], v[93:94]
	v_add_f64_e32 v[131:132], v[183:184], v[161:162]
	v_add_f64_e32 v[161:162], v[187:188], v[223:224]
	v_mul_f64_e32 v[183:184], s[12:13], v[143:144]
	v_add_f64_e32 v[157:158], v[179:180], v[165:166]
	v_mul_f64_e32 v[187:188], s[44:45], v[143:144]
	v_mul_f64_e32 v[143:144], s[38:39], v[143:144]
	v_add_f64_e32 v[127:128], v[237:238], v[58:59]
	v_add_f64_e32 v[28:29], v[68:69], v[28:29]
	;; [unrolled: 1-line block ×15, first 2 shown]
	v_fma_f64 v[115:116], v[139:140], s[18:19], v[185:186]
	v_add_f64_e32 v[8:9], v[235:236], v[8:9]
	v_add_f64_e32 v[10:11], v[213:214], v[10:11]
	v_fma_f64 v[185:186], v[139:140], s[18:19], -v[185:186]
	v_add_f64_e32 v[107:108], v[107:108], v[131:132]
	v_add_f64_e32 v[161:162], v[253:254], v[161:162]
	v_mul_f64_e32 v[131:132], s[36:37], v[141:142]
	v_mul_f64_e32 v[141:142], s[38:39], v[141:142]
	v_fma_f64 v[74:75], v[137:138], s[18:19], -v[183:184]
	v_add_f64_e32 v[121:122], v[229:230], v[157:158]
	v_fma_f64 v[117:118], v[137:138], s[26:27], -v[187:188]
	v_fma_f64 v[95:96], v[137:138], s[26:27], v[187:188]
	v_fma_f64 v[103:104], v[137:138], s[24:25], -v[143:144]
	v_fma_f64 v[183:184], v[137:138], s[18:19], v[183:184]
	v_add_f64_e32 v[34:35], v[245:246], v[34:35]
	v_add_f64_e32 v[101:102], v[101:102], v[18:19]
	;; [unrolled: 1-line block ×8, first 2 shown]
	v_fma_f64 v[169:170], v[139:140], s[14:15], v[131:132]
	v_fma_f64 v[105:106], v[139:140], s[24:25], v[141:142]
	;; [unrolled: 1-line block ×3, first 2 shown]
	v_fma_f64 v[109:110], v[139:140], s[24:25], -v[141:142]
	v_fma_f64 v[131:132], v[139:140], s[14:15], -v[131:132]
	v_add_f64_e32 v[137:138], v[54:55], v[78:79]
	v_add_f64_e32 v[139:140], v[93:94], v[64:65]
	;; [unrolled: 1-line block ×25, first 2 shown]
	v_mul_u32_u24_e32 v4, 0xd0, v82
	s_delay_alu instid0(VALU_DEP_1)
	v_add3_u32 v4, 0, v4, v90
	v_add_f64_e32 v[74:75], v[185:186], v[26:27]
	v_add_f64_e32 v[78:79], v[149:150], v[88:89]
	;; [unrolled: 1-line block ×3, first 2 shown]
	ds_store_b128 v4, v[56:59] offset:32
	ds_store_b128 v4, v[68:71] offset:48
	;; [unrolled: 1-line block ×10, first 2 shown]
	ds_store_b128 v4, v[60:63]
	ds_store_b128 v4, v[52:55] offset:16
	ds_store_b128 v4, v[111:114] offset:192
	s_and_saveexec_b32 s1, s0
	s_cbranch_execz .LBB0_21
; %bb.20:
	s_clause 0x7
	scratch_load_b128 v[70:73], off, off offset:28 th:TH_LOAD_LU
	scratch_load_b128 v[183:186], off, off offset:108 th:TH_LOAD_LU
	;; [unrolled: 1-line block ×8, first 2 shown]
	v_add_f64_e32 v[60:61], v[50:51], v[38:39]
	v_add_f64_e64 v[64:65], v[50:51], -v[38:39]
	v_add_f64_e64 v[54:55], v[48:49], -v[36:37]
	v_add_f64_e32 v[56:57], v[48:49], v[36:37]
	v_add_f64_e32 v[58:59], v[46:47], v[42:43]
	v_add_f64_e64 v[62:63], v[46:47], -v[42:43]
	v_add_f64_e64 v[10:11], v[44:45], -v[40:41]
	v_add_f64_e32 v[52:53], v[44:45], v[40:41]
	v_mul_f64_e32 v[169:170], s[14:15], v[60:61]
	v_mul_f64_e32 v[161:162], s[30:31], v[60:61]
	;; [unrolled: 1-line block ×8, first 2 shown]
	s_wait_loadcnt 0x7
	v_add_f64_e32 v[4:5], v[2:3], v[72:73]
	v_add_f64_e32 v[6:7], v[0:1], v[70:71]
	s_wait_loadcnt 0x5
	v_add_f64_e32 v[8:9], v[185:186], v[191:192]
	s_wait_loadcnt 0x3
	;; [unrolled: 2-line block ×3, first 2 shown]
	v_add_f64_e32 v[16:17], v[72:73], v[243:244]
	v_add_f64_e64 v[22:23], v[72:73], -v[243:244]
	v_add_f64_e32 v[14:15], v[68:69], v[247:248]
	v_add_f64_e64 v[18:19], v[185:186], -v[191:192]
	v_add_f64_e64 v[24:25], v[183:184], -v[189:190]
	;; [unrolled: 1-line block ×3, first 2 shown]
	v_add_f64_e32 v[70:71], v[70:71], v[241:242]
	v_add_f64_e64 v[20:21], v[129:130], -v[251:252]
	v_add_f64_e64 v[26:27], v[127:128], -v[249:250]
	;; [unrolled: 1-line block ×3, first 2 shown]
	v_add_f64_e32 v[32:33], v[183:184], v[189:190]
	v_add_f64_e32 v[34:35], v[127:128], v[249:250]
	;; [unrolled: 1-line block ×4, first 2 shown]
	v_add_f64_e64 v[68:69], v[68:69], -v[247:248]
	v_mul_f64_e32 v[72:73], s[26:27], v[8:9]
	v_mul_f64_e32 v[78:79], s[16:17], v[16:17]
	;; [unrolled: 1-line block ×4, first 2 shown]
	v_add_f64_e32 v[66:67], v[66:67], v[245:246]
	v_mul_f64_e32 v[74:75], s[18:19], v[12:13]
	v_mul_f64_e32 v[76:77], s[14:15], v[14:15]
	;; [unrolled: 1-line block ×30, first 2 shown]
	v_add_f64_e32 v[4:5], v[4:5], v[129:130]
	v_add_f64_e32 v[6:7], v[6:7], v[127:128]
	v_mul_f64_e32 v[149:150], s[36:37], v[68:69]
	v_fma_f64 v[8:9], v[24:25], s[22:23], v[72:73]
	v_fma_f64 v[181:182], v[30:31], s[40:41], v[78:79]
	;; [unrolled: 1-line block ×4, first 2 shown]
	v_fma_f64 v[91:92], v[70:71], s[16:17], -v[91:92]
	v_fma_f64 v[195:196], v[30:31], s[34:35], v[99:100]
	v_fma_f64 v[177:178], v[26:27], s[34:35], v[74:75]
	;; [unrolled: 1-line block ×6, first 2 shown]
	v_fma_f64 v[72:73], v[32:33], s[26:27], -v[86:87]
	v_fma_f64 v[193:194], v[28:29], s[20:21], v[97:98]
	v_fma_f64 v[197:198], v[32:33], s[16:17], v[101:102]
	;; [unrolled: 1-line block ×3, first 2 shown]
	v_fma_f64 v[105:106], v[70:71], s[18:19], -v[105:106]
	v_fma_f64 v[205:206], v[26:27], s[10:11], v[109:110]
	v_fma_f64 v[215:216], v[70:71], s[30:31], v[119:120]
	v_fma_f64 v[109:110], v[26:27], s[36:37], v[109:110]
	v_mul_f64_e32 v[127:128], s[24:25], v[16:17]
	v_fma_f64 v[233:234], v[26:27], s[40:41], v[137:138]
	v_fma_f64 v[219:220], v[70:71], s[26:27], v[147:148]
	v_fma_f64 v[147:148], v[70:71], s[26:27], -v[147:148]
	v_fma_f64 v[237:238], v[24:25], s[42:43], v[239:240]
	v_fma_f64 v[223:224], v[70:71], s[14:15], v[22:23]
	v_fma_f64 v[22:23], v[70:71], s[14:15], -v[22:23]
	v_fma_f64 v[137:138], v[26:27], s[4:5], v[137:138]
	v_mul_f64_e32 v[16:17], s[14:15], v[16:17]
	v_mul_f64_e32 v[151:152], s[38:39], v[68:69]
	;; [unrolled: 1-line block ×3, first 2 shown]
	v_fma_f64 v[99:100], v[30:31], s[12:13], v[99:100]
	v_fma_f64 v[209:210], v[30:31], s[42:43], v[113:114]
	;; [unrolled: 1-line block ×5, first 2 shown]
	v_add_f64_e32 v[4:5], v[4:5], v[185:186]
	v_add_f64_e32 v[6:7], v[6:7], v[183:184]
	v_fma_f64 v[183:184], v[32:33], s[26:27], v[86:87]
	scratch_store_b64 off, v[8:9], off offset:12 ; 8-byte Folded Spill
	v_fma_f64 v[8:9], v[26:27], s[44:45], v[95:96]
	v_fma_f64 v[95:96], v[26:27], s[22:23], v[95:96]
	v_fma_f64 v[86:87], v[32:33], s[16:17], -v[101:102]
	v_fma_f64 v[101:102], v[24:25], s[28:29], v[239:240]
	v_fma_f64 v[239:240], v[26:27], s[38:39], v[12:13]
	;; [unrolled: 1-line block ×3, first 2 shown]
	v_add_f64_e32 v[78:79], v[2:3], v[78:79]
	v_add_f64_e32 v[91:92], v[0:1], v[91:92]
	;; [unrolled: 1-line block ×3, first 2 shown]
	v_fma_f64 v[185:186], v[34:35], s[18:19], v[88:89]
	v_fma_f64 v[88:89], v[34:35], s[18:19], -v[88:89]
	v_fma_f64 v[141:142], v[30:31], s[22:23], v[141:142]
	v_mul_f64_e32 v[129:130], s[36:37], v[18:19]
	v_mul_f64_e32 v[143:144], s[34:35], v[18:19]
	;; [unrolled: 1-line block ×9, first 2 shown]
	v_fma_f64 v[97:98], v[28:29], s[38:39], v[97:98]
	v_fma_f64 v[207:208], v[28:29], s[12:13], v[111:112]
	;; [unrolled: 1-line block ×7, first 2 shown]
	v_add_f64_e32 v[187:188], v[0:1], v[187:188]
	v_add_f64_e32 v[201:202], v[0:1], v[201:202]
	v_add_f64_e32 v[99:100], v[2:3], v[99:100]
	v_add_f64_e32 v[105:106], v[0:1], v[105:106]
	v_add_f64_e32 v[215:216], v[0:1], v[215:216]
	v_add_f64_e32 v[113:114], v[2:3], v[113:114]
	v_add_f64_e32 v[4:5], v[4:5], v[50:51]
	v_fma_f64 v[50:51], v[70:71], s[30:31], -v[119:120]
	v_fma_f64 v[119:120], v[70:71], s[24:25], v[133:134]
	v_fma_f64 v[133:134], v[70:71], s[24:25], -v[133:134]
	v_fma_f64 v[70:71], v[26:27], s[28:29], v[123:124]
	v_fma_f64 v[123:124], v[26:27], s[42:43], v[123:124]
	v_fma_f64 v[26:27], v[66:67], s[14:15], v[149:150]
	v_fma_f64 v[149:150], v[66:67], s[14:15], -v[149:150]
	v_add_f64_e32 v[6:7], v[6:7], v[48:49]
	v_fma_f64 v[48:49], v[34:35], s[14:15], -v[117:118]
	v_add_f64_e32 v[76:77], v[76:77], v[78:79]
	v_fma_f64 v[117:118], v[30:31], s[38:39], v[127:128]
	v_add_f64_e32 v[193:194], v[193:194], v[195:196]
	v_fma_f64 v[127:128], v[30:31], s[20:21], v[127:128]
	v_add_f64_e32 v[219:220], v[0:1], v[219:220]
	v_add_f64_e32 v[141:142], v[2:3], v[141:142]
	;; [unrolled: 1-line block ×4, first 2 shown]
	v_fma_f64 v[253:254], v[24:25], s[4:5], v[93:94]
	v_fma_f64 v[199:200], v[34:35], s[26:27], v[103:104]
	;; [unrolled: 1-line block ×3, first 2 shown]
	v_fma_f64 v[103:104], v[34:35], s[26:27], -v[103:104]
	v_fma_f64 v[203:204], v[24:25], s[38:39], v[107:108]
	v_fma_f64 v[211:212], v[32:33], s[24:25], v[115:116]
	;; [unrolled: 1-line block ×3, first 2 shown]
	v_fma_f64 v[115:116], v[32:33], s[24:25], -v[115:116]
	v_fma_f64 v[30:31], v[24:25], s[10:11], v[121:122]
	v_fma_f64 v[227:228], v[32:33], s[14:15], v[129:130]
	;; [unrolled: 1-line block ×4, first 2 shown]
	v_fma_f64 v[129:130], v[32:33], s[14:15], -v[129:130]
	v_fma_f64 v[131:132], v[34:35], s[30:31], -v[131:132]
	v_fma_f64 v[231:232], v[24:25], s[12:13], v[135:136]
	v_fma_f64 v[235:236], v[28:29], s[42:43], v[139:140]
	;; [unrolled: 1-line block ×4, first 2 shown]
	v_add_f64_e32 v[181:182], v[2:3], v[181:182]
	v_add_f64_e32 v[209:210], v[2:3], v[209:210]
	;; [unrolled: 1-line block ×3, first 2 shown]
	v_fma_f64 v[46:47], v[66:67], s[24:25], -v[151:152]
	v_add_f64_e32 v[50:51], v[0:1], v[50:51]
	v_add_f64_e32 v[119:120], v[0:1], v[119:120]
	;; [unrolled: 1-line block ×4, first 2 shown]
	v_fma_f64 v[22:23], v[28:29], s[28:29], v[139:140]
	v_add_f64_e32 v[91:92], v[149:150], v[91:92]
	v_add_f64_e32 v[6:7], v[6:7], v[44:45]
	v_fma_f64 v[44:45], v[66:67], s[24:25], v[151:152]
	v_add_f64_e32 v[74:75], v[74:75], v[76:77]
	v_fma_f64 v[151:152], v[66:67], s[18:19], v[153:154]
	v_add_f64_e32 v[117:118], v[2:3], v[117:118]
	v_add_f64_e32 v[127:128], v[2:3], v[127:128]
	;; [unrolled: 1-line block ×5, first 2 shown]
	v_fma_f64 v[16:17], v[34:35], s[16:17], v[145:146]
	v_fma_f64 v[139:140], v[32:33], s[18:19], -v[143:144]
	v_fma_f64 v[143:144], v[66:67], s[18:19], -v[153:154]
	;; [unrolled: 1-line block ×3, first 2 shown]
	v_fma_f64 v[153:154], v[28:29], s[44:45], v[14:15]
	v_fma_f64 v[14:15], v[28:29], s[22:23], v[14:15]
	;; [unrolled: 1-line block ×3, first 2 shown]
	v_fma_f64 v[18:19], v[32:33], s[30:31], -v[18:19]
	v_fma_f64 v[32:33], v[34:35], s[24:25], v[20:21]
	v_fma_f64 v[20:21], v[34:35], s[24:25], -v[20:21]
	v_fma_f64 v[34:35], v[66:67], s[16:17], v[155:156]
	v_fma_f64 v[155:156], v[66:67], s[16:17], -v[155:156]
	v_add_f64_e32 v[97:98], v[97:98], v[99:100]
	v_add_f64_e32 v[111:112], v[111:112], v[113:114]
	;; [unrolled: 1-line block ×3, first 2 shown]
	v_mul_f64_e32 v[195:196], s[26:27], v[60:61]
	v_mul_f64_e32 v[113:114], s[38:39], v[64:65]
	;; [unrolled: 1-line block ×4, first 2 shown]
	v_add_f64_e32 v[179:180], v[179:180], v[181:182]
	v_add_f64_e32 v[207:208], v[207:208], v[209:210]
	v_add_f64_e32 v[4:5], v[4:5], v[42:43]
	v_fma_f64 v[42:43], v[66:67], s[30:31], -v[157:158]
	v_add_f64_e32 v[46:47], v[46:47], v[105:106]
	v_mul_f64_e32 v[209:210], s[24:25], v[60:61]
	v_mul_f64_e32 v[181:182], s[16:17], v[60:61]
	;; [unrolled: 1-line block ×3, first 2 shown]
	v_add_f64_e32 v[22:23], v[22:23], v[141:142]
	v_add_f64_e32 v[76:77], v[88:89], v[91:92]
	;; [unrolled: 1-line block ×3, first 2 shown]
	scratch_load_b64 v[8:9], off, off offset:12 th:TH_LOAD_LU ; 8-byte Folded Reload
	v_add_f64_e32 v[6:7], v[6:7], v[40:41]
	v_fma_f64 v[40:41], v[66:67], s[30:31], v[157:158]
	v_fma_f64 v[157:158], v[66:67], s[26:27], v[68:69]
	v_fma_f64 v[66:67], v[66:67], s[26:27], -v[68:69]
	v_add_f64_e32 v[125:126], v[125:126], v[127:128]
	v_add_f64_e32 v[44:45], v[44:45], v[201:202]
	;; [unrolled: 1-line block ×6, first 2 shown]
	v_mul_f64_e32 v[60:61], s[18:19], v[60:61]
	v_add_f64_e32 v[153:154], v[153:154], v[221:222]
	v_add_f64_e32 v[2:3], v[14:15], v[2:3]
	v_mul_f64_e32 v[149:150], s[18:19], v[58:59]
	v_mul_f64_e32 v[105:106], s[14:15], v[58:59]
	;; [unrolled: 1-line block ×4, first 2 shown]
	v_add_f64_e32 v[34:35], v[34:35], v[119:120]
	v_add_f64_e32 v[133:134], v[155:156], v[133:134]
	;; [unrolled: 1-line block ×3, first 2 shown]
	v_fma_f64 v[225:226], v[54:55], s[42:43], v[161:162]
	v_add_f64_e32 v[26:27], v[185:186], v[26:27]
	v_fma_f64 v[155:156], v[56:57], s[30:31], v[165:166]
	v_fma_f64 v[161:162], v[54:55], s[28:29], v[161:162]
	v_fma_f64 v[165:166], v[56:57], s[30:31], -v[165:166]
	v_fma_f64 v[235:236], v[56:57], s[14:15], v[173:174]
	v_add_f64_e32 v[177:178], v[177:178], v[179:180]
	v_add_f64_e32 v[95:96], v[205:206], v[207:208]
	;; [unrolled: 1-line block ×6, first 2 shown]
	v_fma_f64 v[38:39], v[54:55], s[36:37], v[169:170]
	v_fma_f64 v[147:148], v[54:55], s[10:11], v[169:170]
	v_add_f64_e32 v[22:23], v[137:138], v[22:23]
	v_add_f64_e32 v[72:73], v[72:73], v[76:77]
	v_fma_f64 v[169:170], v[54:55], s[4:5], v[181:182]
	v_mul_f64_e32 v[68:69], s[26:27], v[58:59]
	v_add_f64_e32 v[6:7], v[6:7], v[36:37]
	v_add_f64_e32 v[40:41], v[40:41], v[219:220]
	;; [unrolled: 1-line block ×7, first 2 shown]
	v_fma_f64 v[123:124], v[56:57], s[24:25], v[113:114]
	v_fma_f64 v[125:126], v[54:55], s[38:39], v[209:210]
	v_add_f64_e32 v[48:49], v[48:49], v[50:51]
	v_add_f64_e32 v[50:51], v[70:71], v[117:118]
	;; [unrolled: 1-line block ×4, first 2 shown]
	v_fma_f64 v[113:114], v[56:57], s[24:25], -v[113:114]
	v_fma_f64 v[157:158], v[56:57], s[14:15], -v[173:174]
	v_fma_f64 v[173:174], v[56:57], s[16:17], v[78:79]
	v_fma_f64 v[78:79], v[56:57], s[16:17], -v[78:79]
	v_add_f64_e32 v[34:35], v[229:230], v[34:35]
	v_add_f64_e32 v[111:112], v[131:132], v[133:134]
	;; [unrolled: 1-line block ×3, first 2 shown]
	v_fma_f64 v[133:134], v[56:57], s[18:19], v[64:65]
	v_add_f64_e32 v[26:27], v[183:184], v[26:27]
	v_mul_f64_e32 v[187:188], s[44:45], v[62:63]
	v_mul_f64_e32 v[62:63], s[4:5], v[62:63]
	v_fma_f64 v[181:182], v[54:55], s[40:41], v[181:182]
	v_mul_f64_e32 v[58:59], s[16:17], v[58:59]
	v_fma_f64 v[117:118], v[54:55], s[20:21], v[209:210]
	v_fma_f64 v[131:132], v[54:55], s[34:35], v[60:61]
	v_add_f64_e32 v[4:5], v[4:5], v[191:192]
	v_add_f64_e32 v[42:43], v[145:146], v[42:43]
	;; [unrolled: 1-line block ×5, first 2 shown]
	v_fma_f64 v[103:104], v[10:11], s[36:37], v[105:106]
	v_add_f64_e32 v[22:23], v[135:136], v[22:23]
	v_fma_f64 v[143:144], v[10:11], s[20:21], v[159:160]
	v_fma_f64 v[127:128], v[52:53], s[24:25], v[163:164]
	;; [unrolled: 1-line block ×3, first 2 shown]
	v_add_f64_e32 v[6:7], v[6:7], v[189:190]
	v_add_f64_e32 v[16:17], v[16:17], v[40:41]
	;; [unrolled: 1-line block ×5, first 2 shown]
	v_fma_f64 v[32:33], v[54:55], s[22:23], v[195:196]
	v_add_f64_e32 v[93:94], v[121:122], v[109:110]
	v_fma_f64 v[20:21], v[56:57], s[26:27], v[99:100]
	v_fma_f64 v[99:100], v[56:57], s[26:27], -v[99:100]
	v_fma_f64 v[56:57], v[56:57], s[18:19], -v[64:65]
	v_add_f64_e32 v[64:65], v[175:176], v[74:75]
	v_add_f64_e32 v[74:75], v[253:254], v[88:89]
	;; [unrolled: 1-line block ×3, first 2 shown]
	v_fma_f64 v[14:15], v[54:55], s[44:45], v[195:196]
	v_fma_f64 v[54:55], v[54:55], s[12:13], v[60:61]
	v_add_f64_e32 v[44:45], v[197:198], v[44:45]
	v_add_f64_e32 v[88:89], v[211:212], v[97:98]
	;; [unrolled: 1-line block ×7, first 2 shown]
	v_fma_f64 v[97:98], v[10:11], s[10:11], v[105:106]
	v_fma_f64 v[105:106], v[52:53], s[14:15], -v[215:216]
	v_add_f64_e32 v[38:39], v[38:39], v[76:77]
	v_fma_f64 v[70:71], v[52:53], s[18:19], -v[201:202]
	v_fma_f64 v[163:164], v[52:53], s[24:25], -v[163:164]
	v_fma_f64 v[141:142], v[10:11], s[42:43], v[167:168]
	v_add_f64_e32 v[4:5], v[4:5], v[251:252]
	v_add_f64_e32 v[42:43], v[139:140], v[42:43]
	v_fma_f64 v[119:120], v[52:53], s[30:31], v[171:172]
	v_fma_f64 v[36:37], v[10:11], s[28:29], v[167:168]
	v_fma_f64 v[66:67], v[52:53], s[30:31], -v[171:172]
	v_fma_f64 v[167:168], v[10:11], s[22:23], v[68:69]
	v_add_f64_e32 v[76:77], v[125:126], v[22:23]
	v_fma_f64 v[171:172], v[52:53], s[26:27], v[187:188]
	v_fma_f64 v[68:69], v[10:11], s[44:45], v[68:69]
	v_fma_f64 v[187:188], v[52:53], s[26:27], -v[187:188]
	v_add_f64_e32 v[6:7], v[6:7], v[249:250]
	v_add_f64_e32 v[16:17], v[24:25], v[16:17]
	;; [unrolled: 1-line block ×4, first 2 shown]
	v_fma_f64 v[40:41], v[52:53], s[18:19], v[201:202]
	v_fma_f64 v[101:102], v[52:53], s[14:15], v[215:216]
	v_add_f64_e32 v[32:33], v[32:33], v[93:94]
	v_fma_f64 v[109:110], v[52:53], s[16:17], v[62:63]
	v_fma_f64 v[52:53], v[52:53], s[16:17], -v[62:63]
	v_add_f64_e32 v[46:47], v[157:158], v[46:47]
	v_fma_f64 v[18:19], v[10:11], s[34:35], v[149:150]
	v_add_f64_e32 v[62:63], v[147:148], v[74:75]
	v_add_f64_e32 v[74:75], v[181:182], v[91:92]
	;; [unrolled: 1-line block ×3, first 2 shown]
	v_fma_f64 v[107:108], v[10:11], s[40:41], v[58:59]
	v_fma_f64 v[58:59], v[10:11], s[4:5], v[58:59]
	v_add_f64_e32 v[44:45], v[235:236], v[44:45]
	v_add_f64_e32 v[78:79], v[14:15], v[30:31]
	;; [unrolled: 1-line block ×13, first 2 shown]
	s_delay_alu instid0(VALU_DEP_4)
	v_add_f64_e32 v[48:49], v[52:53], v[56:57]
	s_wait_loadcnt 0x0
	v_add_f64_e32 v[60:61], v[8:9], v[177:178]
	v_add_f64_e32 v[8:9], v[28:29], v[12:13]
	v_fma_f64 v[28:29], v[10:11], s[12:13], v[149:150]
	v_add_f64_e32 v[12:13], v[155:156], v[26:27]
	v_add_f64_e32 v[26:27], v[161:162], v[64:65]
	;; [unrolled: 1-line block ×31, first 2 shown]
	ds_store_b128 v255, v[32:35] offset:2736
	ds_store_b128 v255, v[28:31] offset:2752
	;; [unrolled: 1-line block ×13, first 2 shown]
.LBB0_21:
	s_wait_alu 0xfffe
	s_or_b32 exec_lo, exec_lo, s1
	global_wb scope:SCOPE_SE
	s_wait_storecnt_dscnt 0x0
	s_barrier_signal -1
	s_barrier_wait -1
	global_inv scope:SCOPE_SE
	scratch_load_b64 v[0:1], off, off th:TH_LOAD_LU ; 8-byte Folded Reload
	v_add_nc_u16 v2, v82, 26
	v_add_nc_u16 v4, v82, 39
	;; [unrolled: 1-line block ×5, first 2 shown]
	v_and_b32_e32 v3, 0xff, v2
	v_and_b32_e32 v7, 0xff, v4
	;; [unrolled: 1-line block ×5, first 2 shown]
	v_mul_lo_u16 v3, 0x4f, v3
	v_mul_lo_u16 v7, 0x4f, v7
	;; [unrolled: 1-line block ×5, first 2 shown]
	v_lshrrev_b16 v3, 10, v3
	v_lshrrev_b16 v7, 10, v7
	;; [unrolled: 1-line block ×4, first 2 shown]
	s_mov_b32 s4, 0x36b3c0b5
	v_mul_lo_u16 v3, v3, 13
	s_mov_b32 s5, 0x3fac98ee
	v_mul_lo_u16 v9, v9, 13
	v_mul_lo_u16 v10, v10, 13
	s_mov_b32 s10, 0x429ad128
	v_sub_nc_u16 v2, v2, v3
	v_mul_lo_u16 v3, v7, 13
	v_lshrrev_b16 v7, 10, v11
	v_sub_nc_u16 v5, v5, v9
	v_sub_nc_u16 v6, v6, v10
	v_and_b32_e32 v2, 0xff, v2
	v_sub_nc_u16 v3, v4, v3
	v_mul_lo_u16 v4, v7, 13
	v_and_b32_e32 v5, 0xff, v5
	s_mov_b32 s11, 0x3febfeb5
	v_lshlrev_b32_e32 v72, 4, v2
	v_and_b32_e32 v7, 0xff, v3
	v_sub_nc_u16 v4, v8, v4
	v_and_b32_e32 v8, 0xff, v6
	v_lshlrev_b32_e32 v74, 4, v5
	s_mov_b32 s12, 0xaaaaaaaa
	v_lshlrev_b32_e32 v73, 4, v7
	v_and_b32_e32 v12, 0xff, v4
	global_load_b128 v[4:7], v72, s[8:9]
	v_lshlrev_b32_e32 v75, 4, v8
	s_mov_b32 s14, 0xb247c609
	global_load_b128 v[8:11], v73, s[8:9]
	v_lshlrev_b32_e32 v76, 4, v12
	s_mov_b32 s13, 0xbff2aaaa
	s_mov_b32 s15, 0x3fd5d0dc
	s_mov_b32 s17, 0xbfd5d0dc
	s_wait_alu 0xfffe
	s_mov_b32 s16, s14
	s_wait_loadcnt 0x2
	v_add_co_u32 v0, s0, s8, v0
	s_wait_alu 0xf1ff
	v_add_co_ci_u32_e64 v1, s0, s9, v1, s0
	s_mov_b32 s0, 0x37e14327
	s_mov_b32 s1, 0x3fe948f6
	s_clause 0x3
	global_load_b128 v[0:3], v[0:1], off
	global_load_b128 v[12:15], v74, s[8:9]
	global_load_b128 v[16:19], v75, s[8:9]
	;; [unrolled: 1-line block ×3, first 2 shown]
	ds_load_b128 v[24:27], v83 offset:1456
	ds_load_b128 v[28:31], v83 offset:1664
	;; [unrolled: 1-line block ×8, first 2 shown]
	scratch_load_b32 v122, off, off offset:8 th:TH_LOAD_LU ; 4-byte Folded Reload
	s_wait_loadcnt_dscnt 0x605
	v_mul_f64_e32 v[62:63], v[34:35], v[6:7]
	v_mul_f64_e32 v[6:7], v[32:33], v[6:7]
	s_wait_loadcnt_dscnt 0x504
	v_mul_f64_e32 v[64:65], v[38:39], v[10:11]
	v_mul_f64_e32 v[10:11], v[36:37], v[10:11]
	s_delay_alu instid0(VALU_DEP_4) | instskip(NEXT) | instid1(VALU_DEP_4)
	v_fma_f64 v[32:33], v[32:33], v[4:5], -v[62:63]
	v_fma_f64 v[34:35], v[34:35], v[4:5], v[6:7]
	s_delay_alu instid0(VALU_DEP_4) | instskip(NEXT) | instid1(VALU_DEP_4)
	v_fma_f64 v[36:37], v[36:37], v[8:9], -v[64:65]
	v_fma_f64 v[38:39], v[38:39], v[8:9], v[10:11]
	s_wait_loadcnt_dscnt 0x303
	v_mul_f64_e32 v[66:67], v[42:43], v[14:15]
	v_mul_f64_e32 v[56:57], v[26:27], v[2:3]
	;; [unrolled: 1-line block ×6, first 2 shown]
	s_wait_loadcnt_dscnt 0x202
	v_mul_f64_e32 v[68:69], v[46:47], v[18:19]
	v_mul_f64_e32 v[18:19], v[44:45], v[18:19]
	s_wait_loadcnt_dscnt 0x101
	v_mul_f64_e32 v[70:71], v[50:51], v[22:23]
	v_mul_f64_e32 v[22:23], v[48:49], v[22:23]
	v_fma_f64 v[40:41], v[40:41], v[12:13], -v[66:67]
	v_fma_f64 v[24:25], v[24:25], v[0:1], -v[56:57]
	v_fma_f64 v[26:27], v[26:27], v[0:1], v[58:59]
	v_fma_f64 v[28:29], v[28:29], v[0:1], -v[60:61]
	v_fma_f64 v[30:31], v[30:31], v[0:1], v[2:3]
	v_fma_f64 v[42:43], v[42:43], v[12:13], v[14:15]
	v_fma_f64 v[44:45], v[44:45], v[16:17], -v[68:69]
	v_fma_f64 v[46:47], v[46:47], v[16:17], v[18:19]
	v_fma_f64 v[48:49], v[48:49], v[20:21], -v[70:71]
	v_fma_f64 v[50:51], v[50:51], v[20:21], v[22:23]
	s_wait_loadcnt 0x0
	ds_load_b128 v[0:3], v122
	ds_load_b128 v[4:7], v83 offset:208
	ds_load_b128 v[8:11], v83 offset:416
	;; [unrolled: 1-line block ×5, first 2 shown]
	v_mul_u32_u24_e32 v56, 6, v82
	v_add3_u32 v57, 0, v72, v90
	global_wb scope:SCOPE_SE
	s_wait_dscnt 0x0
	s_barrier_signal -1
	s_barrier_wait -1
	v_lshlrev_b32_e32 v56, 4, v56
	global_inv scope:SCOPE_SE
	v_add3_u32 v58, 0, v73, v90
	v_add3_u32 v59, 0, v74, v90
	;; [unrolled: 1-line block ×4, first 2 shown]
	v_add_f64_e64 v[32:33], v[8:9], -v[32:33]
	v_add_f64_e64 v[34:35], v[10:11], -v[34:35]
	v_add_f64_e64 v[36:37], v[12:13], -v[36:37]
	v_add_f64_e64 v[38:39], v[14:15], -v[38:39]
	v_add_f64_e64 v[40:41], v[16:17], -v[40:41]
	v_add_f64_e64 v[24:25], v[0:1], -v[24:25]
	v_add_f64_e64 v[26:27], v[2:3], -v[26:27]
	v_add_f64_e64 v[28:29], v[4:5], -v[28:29]
	v_add_f64_e64 v[30:31], v[6:7], -v[30:31]
	v_add_f64_e64 v[42:43], v[18:19], -v[42:43]
	v_add_f64_e64 v[44:45], v[20:21], -v[44:45]
	v_add_f64_e64 v[46:47], v[22:23], -v[46:47]
	v_add_f64_e64 v[48:49], v[52:53], -v[48:49]
	v_add_f64_e64 v[50:51], v[54:55], -v[50:51]
	v_fma_f64 v[8:9], v[8:9], 2.0, -v[32:33]
	v_fma_f64 v[10:11], v[10:11], 2.0, -v[34:35]
	;; [unrolled: 1-line block ×14, first 2 shown]
	ds_store_b128 v83, v[0:3]
	ds_store_b128 v83, v[24:27] offset:208
	ds_store_b128 v83, v[4:7] offset:416
	ds_store_b128 v83, v[28:31] offset:624
	ds_store_b128 v57, v[8:11] offset:832
	ds_store_b128 v57, v[32:35] offset:1040
	ds_store_b128 v58, v[12:15] offset:1248
	ds_store_b128 v58, v[36:39] offset:1456
	ds_store_b128 v59, v[16:19] offset:1664
	ds_store_b128 v59, v[40:43] offset:1872
	ds_store_b128 v60, v[20:23] offset:2080
	ds_store_b128 v60, v[44:47] offset:2288
	ds_store_b128 v61, v[52:55] offset:2496
	ds_store_b128 v61, v[48:51] offset:2704
	global_wb scope:SCOPE_SE
	s_wait_dscnt 0x0
	s_barrier_signal -1
	s_barrier_wait -1
	global_inv scope:SCOPE_SE
	s_clause 0xb
	global_load_b128 v[0:3], v56, s[8:9] offset:208
	global_load_b128 v[4:7], v56, s[8:9] offset:224
	;; [unrolled: 1-line block ×12, first 2 shown]
	ds_load_b128 v[48:51], v83 offset:416
	ds_load_b128 v[52:55], v83 offset:832
	;; [unrolled: 1-line block ×12, first 2 shown]
	s_mov_b32 s8, 0xe976ee23
	s_mov_b32 s9, 0xbfe11646
	s_wait_loadcnt_dscnt 0xb0b
	v_mul_f64_e32 v[86:87], v[50:51], v[2:3]
	v_mul_f64_e32 v[2:3], v[48:49], v[2:3]
	s_wait_loadcnt_dscnt 0xa0a
	v_mul_f64_e32 v[88:89], v[54:55], v[6:7]
	v_mul_f64_e32 v[6:7], v[52:53], v[6:7]
	;; [unrolled: 3-line block ×9, first 2 shown]
	s_wait_loadcnt 0x2
	v_mul_f64_e32 v[120:121], v[92:93], v[38:39]
	v_mul_f64_e32 v[38:39], v[90:91], v[38:39]
	v_fma_f64 v[48:49], v[48:49], v[0:1], -v[86:87]
	v_fma_f64 v[0:1], v[50:51], v[0:1], v[2:3]
	v_fma_f64 v[2:3], v[52:53], v[4:5], -v[88:89]
	v_fma_f64 v[4:5], v[54:55], v[4:5], v[6:7]
	;; [unrolled: 2-line block ×4, first 2 shown]
	s_wait_loadcnt_dscnt 0x101
	v_mul_f64_e32 v[14:15], v[100:101], v[42:43]
	v_mul_f64_e32 v[42:43], v[98:99], v[42:43]
	s_wait_loadcnt_dscnt 0x0
	v_mul_f64_e32 v[50:51], v[104:105], v[46:47]
	v_mul_f64_e32 v[46:47], v[102:103], v[46:47]
	v_fma_f64 v[52:53], v[64:65], v[16:17], -v[110:111]
	v_fma_f64 v[16:17], v[66:67], v[16:17], v[18:19]
	v_fma_f64 v[18:19], v[68:69], v[20:21], -v[112:113]
	v_fma_f64 v[20:21], v[70:71], v[20:21], v[22:23]
	;; [unrolled: 2-line block ×6, first 2 shown]
	v_add_f64_e32 v[38:39], v[48:49], v[6:7]
	v_add_f64_e32 v[54:55], v[0:1], v[8:9]
	;; [unrolled: 1-line block ×4, first 2 shown]
	v_fma_f64 v[14:15], v[98:99], v[40:41], -v[14:15]
	v_fma_f64 v[40:41], v[100:101], v[40:41], v[42:43]
	v_fma_f64 v[42:43], v[102:103], v[44:45], -v[50:51]
	v_fma_f64 v[44:45], v[104:105], v[44:45], v[46:47]
	v_add_f64_e64 v[10:11], v[2:3], -v[10:11]
	v_add_f64_e64 v[12:13], v[4:5], -v[12:13]
	;; [unrolled: 1-line block ×3, first 2 shown]
	v_add_f64_e32 v[46:47], v[52:53], v[22:23]
	v_add_f64_e32 v[50:51], v[16:17], v[24:25]
	;; [unrolled: 1-line block ×4, first 2 shown]
	v_add_f64_e64 v[18:19], v[18:19], -v[26:27]
	v_add_f64_e64 v[20:21], v[20:21], -v[28:29]
	v_add_f64_e32 v[64:65], v[30:31], v[34:35]
	v_add_f64_e32 v[66:67], v[32:33], v[36:37]
	v_add_f64_e64 v[30:31], v[34:35], -v[30:31]
	v_add_f64_e64 v[32:33], v[36:37], -v[32:33]
	;; [unrolled: 1-line block ×5, first 2 shown]
	v_add_f64_e32 v[0:1], v[56:57], v[38:39]
	v_add_f64_e32 v[2:3], v[58:59], v[54:55]
	v_add_f64_e32 v[4:5], v[14:15], v[42:43]
	v_add_f64_e32 v[6:7], v[40:41], v[44:45]
	v_add_f64_e64 v[14:15], v[42:43], -v[14:15]
	v_add_f64_e64 v[26:27], v[44:45], -v[40:41]
	;; [unrolled: 1-line block ×3, first 2 shown]
	v_add_f64_e32 v[24:25], v[60:61], v[46:47]
	v_add_f64_e32 v[28:29], v[62:63], v[50:51]
	v_add_f64_e64 v[36:37], v[38:39], -v[64:65]
	v_add_f64_e64 v[40:41], v[54:55], -v[66:67]
	;; [unrolled: 1-line block ×11, first 2 shown]
	v_add_f64_e32 v[10:11], v[30:31], v[10:11]
	v_add_f64_e32 v[12:13], v[32:33], v[12:13]
	v_add_f64_e64 v[30:31], v[34:35], -v[30:31]
	v_add_f64_e64 v[32:33], v[8:9], -v[32:33]
	v_add_f64_e32 v[64:65], v[64:65], v[0:1]
	v_add_f64_e32 v[66:67], v[66:67], v[2:3]
	v_add_f64_e64 v[72:73], v[46:47], -v[4:5]
	v_add_f64_e64 v[74:75], v[50:51], -v[6:7]
	;; [unrolled: 1-line block ×6, first 2 shown]
	v_add_f64_e32 v[18:19], v[14:15], v[18:19]
	v_add_f64_e32 v[20:21], v[26:27], v[20:21]
	v_add_f64_e32 v[24:25], v[4:5], v[24:25]
	v_add_f64_e32 v[28:29], v[6:7], v[28:29]
	ds_load_b128 v[0:3], v122
	ds_load_b128 v[4:7], v83 offset:208
	v_mul_f64_e32 v[96:97], s[10:11], v[70:71]
	s_wait_alu 0xf1fe
	v_mul_f64_e32 v[36:37], s[0:1], v[36:37]
	v_mul_f64_e32 v[40:41], s[0:1], v[40:41]
	v_mul_f64_e32 v[56:57], s[4:5], v[42:43]
	v_mul_f64_e32 v[58:59], s[4:5], v[44:45]
	v_mul_f64_e32 v[48:49], s[8:9], v[48:49]
	v_mul_f64_e32 v[52:53], s[8:9], v[52:53]
	v_add_f64_e64 v[14:15], v[22:23], -v[14:15]
	v_add_f64_e64 v[26:27], v[16:17], -v[26:27]
	v_mul_f64_e32 v[94:95], s[10:11], v[68:69]
	v_mul_f64_e32 v[98:99], s[10:11], v[86:87]
	;; [unrolled: 1-line block ×3, first 2 shown]
	v_add_f64_e64 v[46:47], v[60:61], -v[46:47]
	v_add_f64_e64 v[50:51], v[62:63], -v[50:51]
	v_add_f64_e32 v[10:11], v[10:11], v[34:35]
	v_add_f64_e32 v[8:9], v[12:13], v[8:9]
	global_wb scope:SCOPE_SE
	s_wait_dscnt 0x0
	s_barrier_signal -1
	s_barrier_wait -1
	global_inv scope:SCOPE_SE
	v_add_f64_e32 v[0:1], v[0:1], v[64:65]
	v_add_f64_e32 v[2:3], v[2:3], v[66:67]
	v_mul_f64_e32 v[72:73], s[0:1], v[72:73]
	v_mul_f64_e32 v[74:75], s[0:1], v[74:75]
	;; [unrolled: 1-line block ×6, first 2 shown]
	s_mov_b32 s0, 0x5476071b
	s_mov_b32 s1, 0x3fe77f67
	v_add_f64_e32 v[4:5], v[4:5], v[24:25]
	v_add_f64_e32 v[6:7], v[6:7], v[28:29]
	s_mov_b32 s9, 0xbfe77f67
	s_wait_alu 0xfffe
	s_mov_b32 s8, s0
	v_add_f64_e32 v[12:13], v[18:19], v[22:23]
	v_add_f64_e32 v[16:17], v[20:21], v[16:17]
	v_fma_f64 v[18:19], v[42:43], s[4:5], v[36:37]
	v_fma_f64 v[20:21], v[44:45], s[4:5], v[40:41]
	v_fma_f64 v[22:23], v[38:39], s[0:1], -v[56:57]
	v_fma_f64 v[34:35], v[54:55], s[0:1], -v[58:59]
	v_fma_f64 v[42:43], v[30:31], s[14:15], v[48:49]
	v_fma_f64 v[44:45], v[32:33], s[14:15], v[52:53]
	v_fma_f64 v[32:33], v[32:33], s[16:17], -v[96:97]
	s_wait_alu 0xfffe
	v_fma_f64 v[36:37], v[38:39], s[8:9], -v[36:37]
	v_fma_f64 v[38:39], v[54:55], s[8:9], -v[40:41]
	;; [unrolled: 1-line block ×5, first 2 shown]
	v_fma_f64 v[56:57], v[64:65], s[12:13], v[0:1]
	v_fma_f64 v[58:59], v[66:67], s[12:13], v[2:3]
	;; [unrolled: 1-line block ×6, first 2 shown]
	v_fma_f64 v[68:69], v[86:87], s[10:11], -v[76:77]
	v_fma_f64 v[70:71], v[88:89], s[10:11], -v[78:79]
	;; [unrolled: 1-line block ×4, first 2 shown]
	v_fma_f64 v[24:25], v[24:25], s[12:13], v[4:5]
	v_fma_f64 v[28:29], v[28:29], s[12:13], v[6:7]
	v_fma_f64 v[72:73], v[46:47], s[8:9], -v[72:73]
	v_fma_f64 v[74:75], v[50:51], s[8:9], -v[74:75]
	;; [unrolled: 1-line block ×4, first 2 shown]
	s_mov_b32 s0, 0x37c3f68c
	s_mov_b32 s1, 0x3fdc38aa
	s_wait_alu 0xfffe
	v_fma_f64 v[42:43], v[10:11], s[0:1], v[42:43]
	v_fma_f64 v[44:45], v[8:9], s[0:1], v[44:45]
	;; [unrolled: 1-line block ×6, first 2 shown]
	v_add_f64_e32 v[60:61], v[18:19], v[56:57]
	v_add_f64_e32 v[62:63], v[20:21], v[58:59]
	;; [unrolled: 1-line block ×6, first 2 shown]
	v_fma_f64 v[56:57], v[12:13], s[0:1], v[64:65]
	v_fma_f64 v[58:59], v[16:17], s[0:1], v[66:67]
	;; [unrolled: 1-line block ×6, first 2 shown]
	v_add_f64_e32 v[76:77], v[40:41], v[24:25]
	v_add_f64_e32 v[54:55], v[54:55], v[28:29]
	;; [unrolled: 1-line block ×7, first 2 shown]
	v_add_f64_e64 v[10:11], v[62:63], -v[42:43]
	v_add_f64_e32 v[12:13], v[32:33], v[36:37]
	v_add_f64_e64 v[24:25], v[36:37], -v[32:33]
	v_add_f64_e64 v[14:15], v[38:39], -v[30:31]
	v_add_f64_e32 v[26:27], v[30:31], v[38:39]
	v_add_f64_e64 v[16:17], v[20:21], -v[52:53]
	v_add_f64_e32 v[18:19], v[48:49], v[22:23]
	v_add_f64_e32 v[30:31], v[42:43], v[62:63]
	;; [unrolled: 1-line block ×3, first 2 shown]
	v_add_f64_e64 v[22:23], v[22:23], -v[48:49]
	v_add_f64_e64 v[28:29], v[60:61], -v[44:45]
	v_add_f64_e32 v[32:33], v[58:59], v[76:77]
	v_add_f64_e64 v[34:35], v[54:55], -v[56:57]
	v_add_f64_e32 v[36:37], v[70:71], v[72:73]
	v_add_f64_e64 v[38:39], v[74:75], -v[68:69]
	v_add_f64_e64 v[40:41], v[46:47], -v[66:67]
	v_add_f64_e32 v[42:43], v[64:65], v[50:51]
	v_add_f64_e32 v[44:45], v[66:67], v[46:47]
	v_add_f64_e64 v[46:47], v[50:51], -v[64:65]
	v_add_f64_e64 v[48:49], v[72:73], -v[70:71]
	v_add_f64_e32 v[50:51], v[68:69], v[74:75]
	v_add_f64_e64 v[52:53], v[76:77], -v[58:59]
	v_add_f64_e32 v[54:55], v[56:57], v[54:55]
	ds_store_b128 v83, v[0:3]
	ds_store_b128 v83, v[4:7] offset:208
	ds_store_b128 v83, v[8:11] offset:416
	;; [unrolled: 1-line block ×13, first 2 shown]
	global_wb scope:SCOPE_SE
	s_wait_dscnt 0x0
	s_barrier_signal -1
	s_barrier_wait -1
	global_inv scope:SCOPE_SE
	s_and_saveexec_b32 s0, vcc_lo
	s_cbranch_execz .LBB0_23
; %bb.22:
	v_mul_lo_u32 v2, s3, v84
	v_mul_lo_u32 v3, s2, v85
	v_mad_co_u64_u32 v[0:1], null, s2, v84, 0
	v_dual_mov_b32 v83, 0 :: v_dual_add_nc_u32 v10, 13, v82
	v_lshlrev_b64_e32 v[8:9], 4, v[80:81]
	v_lshl_add_u32 v34, v82, 4, v255
	s_delay_alu instid0(VALU_DEP_3) | instskip(SKIP_4) | instid1(VALU_DEP_4)
	v_dual_mov_b32 v11, v83 :: v_dual_add_nc_u32 v12, 26, v82
	v_add3_u32 v1, v1, v3, v2
	v_lshlrev_b64_e32 v[14:15], 4, v[82:83]
	v_dual_mov_b32 v13, v83 :: v_dual_add_nc_u32 v22, 39, v82
	v_dual_mov_b32 v23, v83 :: v_dual_add_nc_u32 v24, 52, v82
	v_lshlrev_b64_e32 v[16:17], 4, v[0:1]
	ds_load_b128 v[0:3], v34
	ds_load_b128 v[4:7], v34 offset:208
	v_mov_b32_e32 v25, v83
	v_lshlrev_b64_e32 v[22:23], 4, v[22:23]
	v_add_co_u32 v18, vcc_lo, s6, v16
	s_wait_alu 0xfffd
	v_add_co_ci_u32_e32 v19, vcc_lo, s7, v17, vcc_lo
	v_lshlrev_b64_e32 v[16:17], 4, v[10:11]
	s_delay_alu instid0(VALU_DEP_3) | instskip(SKIP_1) | instid1(VALU_DEP_3)
	v_add_co_u32 v36, vcc_lo, v18, v8
	s_wait_alu 0xfffd
	v_add_co_ci_u32_e32 v37, vcc_lo, v19, v9, vcc_lo
	v_lshlrev_b64_e32 v[18:19], 4, v[12:13]
	s_delay_alu instid0(VALU_DEP_3) | instskip(SKIP_1) | instid1(VALU_DEP_3)
	v_add_co_u32 v20, vcc_lo, v36, v14
	s_wait_alu 0xfffd
	v_add_co_ci_u32_e32 v21, vcc_lo, v37, v15, vcc_lo
	ds_load_b128 v[8:11], v34 offset:416
	ds_load_b128 v[12:15], v34 offset:624
	v_add_co_u32 v16, vcc_lo, v36, v16
	s_wait_alu 0xfffd
	v_add_co_ci_u32_e32 v17, vcc_lo, v37, v17, vcc_lo
	v_add_co_u32 v18, vcc_lo, v36, v18
	s_wait_alu 0xfffd
	v_add_co_ci_u32_e32 v19, vcc_lo, v37, v19, vcc_lo
	;; [unrolled: 3-line block ×3, first 2 shown]
	s_wait_dscnt 0x3
	global_store_b128 v[20:21], v[0:3], off
	s_wait_dscnt 0x2
	global_store_b128 v[16:17], v[4:7], off
	;; [unrolled: 2-line block ×4, first 2 shown]
	v_add_nc_u32_e32 v8, 0x41, v82
	v_lshlrev_b64_e32 v[0:1], 4, v[24:25]
	v_dual_mov_b32 v9, v83 :: v_dual_add_nc_u32 v10, 0x4e, v82
	v_dual_mov_b32 v11, v83 :: v_dual_add_nc_u32 v22, 0x5b, v82
	;; [unrolled: 1-line block ×3, first 2 shown]
	s_delay_alu instid0(VALU_DEP_4)
	v_add_co_u32 v16, vcc_lo, v36, v0
	s_wait_alu 0xfffd
	v_add_co_ci_u32_e32 v17, vcc_lo, v37, v1, vcc_lo
	ds_load_b128 v[0:3], v34 offset:832
	ds_load_b128 v[4:7], v34 offset:1040
	v_lshlrev_b64_e32 v[18:19], 4, v[8:9]
	v_lshlrev_b64_e32 v[20:21], 4, v[10:11]
	ds_load_b128 v[8:11], v34 offset:1248
	ds_load_b128 v[12:15], v34 offset:1456
	v_lshlrev_b64_e32 v[22:23], 4, v[22:23]
	v_add_co_u32 v18, vcc_lo, v36, v18
	s_wait_alu 0xfffd
	v_add_co_ci_u32_e32 v19, vcc_lo, v37, v19, vcc_lo
	v_add_co_u32 v20, vcc_lo, v36, v20
	s_wait_alu 0xfffd
	v_add_co_ci_u32_e32 v21, vcc_lo, v37, v21, vcc_lo
	v_add_co_u32 v22, vcc_lo, v36, v22
	s_wait_dscnt 0x3
	global_store_b128 v[16:17], v[0:3], off
	s_wait_dscnt 0x2
	global_store_b128 v[18:19], v[4:7], off
	v_dual_mov_b32 v3, v83 :: v_dual_add_nc_u32 v2, 0x75, v82
	s_wait_alu 0xfffd
	v_add_co_ci_u32_e32 v23, vcc_lo, v37, v23, vcc_lo
	v_lshlrev_b64_e32 v[0:1], 4, v[24:25]
	s_wait_dscnt 0x1
	global_store_b128 v[20:21], v[8:11], off
	s_wait_dscnt 0x0
	global_store_b128 v[22:23], v[12:15], off
	v_lshlrev_b64_e32 v[8:9], 4, v[2:3]
	v_dual_mov_b32 v11, v83 :: v_dual_add_nc_u32 v10, 0x82, v82
	v_add_co_u32 v24, vcc_lo, v36, v0
	s_wait_alu 0xfffd
	v_add_co_ci_u32_e32 v25, vcc_lo, v37, v1, vcc_lo
	s_delay_alu instid0(VALU_DEP_4)
	v_add_co_u32 v26, vcc_lo, v36, v8
	s_wait_alu 0xfffd
	v_add_co_ci_u32_e32 v27, vcc_lo, v37, v9, vcc_lo
	v_lshlrev_b64_e32 v[8:9], 4, v[10:11]
	v_dual_mov_b32 v17, v83 :: v_dual_add_nc_u32 v16, 0x8f, v82
	v_dual_mov_b32 v19, v83 :: v_dual_add_nc_u32 v18, 0x9c, v82
	ds_load_b128 v[0:3], v34 offset:1664
	ds_load_b128 v[4:7], v34 offset:1872
	v_add_co_u32 v28, vcc_lo, v36, v8
	s_wait_alu 0xfffd
	v_add_co_ci_u32_e32 v29, vcc_lo, v37, v9, vcc_lo
	ds_load_b128 v[8:11], v34 offset:2080
	ds_load_b128 v[12:15], v34 offset:2288
	v_lshlrev_b64_e32 v[30:31], 4, v[16:17]
	v_lshlrev_b64_e32 v[32:33], 4, v[18:19]
	ds_load_b128 v[16:19], v34 offset:2496
	ds_load_b128 v[20:23], v34 offset:2704
	v_add_nc_u32_e32 v82, 0xa9, v82
	v_add_co_u32 v30, vcc_lo, v36, v30
	s_delay_alu instid0(VALU_DEP_2)
	v_lshlrev_b64_e32 v[34:35], 4, v[82:83]
	s_wait_alu 0xfffd
	v_add_co_ci_u32_e32 v31, vcc_lo, v37, v31, vcc_lo
	v_add_co_u32 v32, vcc_lo, v36, v32
	s_wait_alu 0xfffd
	v_add_co_ci_u32_e32 v33, vcc_lo, v37, v33, vcc_lo
	v_add_co_u32 v34, vcc_lo, v36, v34
	s_wait_alu 0xfffd
	v_add_co_ci_u32_e32 v35, vcc_lo, v37, v35, vcc_lo
	s_wait_dscnt 0x5
	global_store_b128 v[24:25], v[0:3], off
	s_wait_dscnt 0x4
	global_store_b128 v[26:27], v[4:7], off
	;; [unrolled: 2-line block ×6, first 2 shown]
.LBB0_23:
	s_nop 0
	s_sendmsg sendmsg(MSG_DEALLOC_VGPRS)
	s_endpgm
	.section	.rodata,"a",@progbits
	.p2align	6, 0x0
	.amdhsa_kernel fft_rtc_fwd_len182_factors_13_2_7_wgs_52_tpt_13_dp_op_CI_CI_unitstride_sbrr_C2R_dirReg
		.amdhsa_group_segment_fixed_size 0
		.amdhsa_private_segment_fixed_size 144
		.amdhsa_kernarg_size 104
		.amdhsa_user_sgpr_count 2
		.amdhsa_user_sgpr_dispatch_ptr 0
		.amdhsa_user_sgpr_queue_ptr 0
		.amdhsa_user_sgpr_kernarg_segment_ptr 1
		.amdhsa_user_sgpr_dispatch_id 0
		.amdhsa_user_sgpr_private_segment_size 0
		.amdhsa_wavefront_size32 1
		.amdhsa_uses_dynamic_stack 0
		.amdhsa_enable_private_segment 1
		.amdhsa_system_sgpr_workgroup_id_x 1
		.amdhsa_system_sgpr_workgroup_id_y 0
		.amdhsa_system_sgpr_workgroup_id_z 0
		.amdhsa_system_sgpr_workgroup_info 0
		.amdhsa_system_vgpr_workitem_id 0
		.amdhsa_next_free_vgpr 256
		.amdhsa_next_free_sgpr 46
		.amdhsa_reserve_vcc 1
		.amdhsa_float_round_mode_32 0
		.amdhsa_float_round_mode_16_64 0
		.amdhsa_float_denorm_mode_32 3
		.amdhsa_float_denorm_mode_16_64 3
		.amdhsa_fp16_overflow 0
		.amdhsa_workgroup_processor_mode 1
		.amdhsa_memory_ordered 1
		.amdhsa_forward_progress 0
		.amdhsa_round_robin_scheduling 0
		.amdhsa_exception_fp_ieee_invalid_op 0
		.amdhsa_exception_fp_denorm_src 0
		.amdhsa_exception_fp_ieee_div_zero 0
		.amdhsa_exception_fp_ieee_overflow 0
		.amdhsa_exception_fp_ieee_underflow 0
		.amdhsa_exception_fp_ieee_inexact 0
		.amdhsa_exception_int_div_zero 0
	.end_amdhsa_kernel
	.text
.Lfunc_end0:
	.size	fft_rtc_fwd_len182_factors_13_2_7_wgs_52_tpt_13_dp_op_CI_CI_unitstride_sbrr_C2R_dirReg, .Lfunc_end0-fft_rtc_fwd_len182_factors_13_2_7_wgs_52_tpt_13_dp_op_CI_CI_unitstride_sbrr_C2R_dirReg
                                        ; -- End function
	.section	.AMDGPU.csdata,"",@progbits
; Kernel info:
; codeLenInByte = 13008
; NumSgprs: 48
; NumVgprs: 256
; ScratchSize: 144
; MemoryBound: 0
; FloatMode: 240
; IeeeMode: 1
; LDSByteSize: 0 bytes/workgroup (compile time only)
; SGPRBlocks: 5
; VGPRBlocks: 31
; NumSGPRsForWavesPerEU: 48
; NumVGPRsForWavesPerEU: 256
; Occupancy: 5
; WaveLimiterHint : 1
; COMPUTE_PGM_RSRC2:SCRATCH_EN: 1
; COMPUTE_PGM_RSRC2:USER_SGPR: 2
; COMPUTE_PGM_RSRC2:TRAP_HANDLER: 0
; COMPUTE_PGM_RSRC2:TGID_X_EN: 1
; COMPUTE_PGM_RSRC2:TGID_Y_EN: 0
; COMPUTE_PGM_RSRC2:TGID_Z_EN: 0
; COMPUTE_PGM_RSRC2:TIDIG_COMP_CNT: 0
	.text
	.p2alignl 7, 3214868480
	.fill 96, 4, 3214868480
	.type	__hip_cuid_61d1847810dee32e,@object ; @__hip_cuid_61d1847810dee32e
	.section	.bss,"aw",@nobits
	.globl	__hip_cuid_61d1847810dee32e
__hip_cuid_61d1847810dee32e:
	.byte	0                               ; 0x0
	.size	__hip_cuid_61d1847810dee32e, 1

	.ident	"AMD clang version 19.0.0git (https://github.com/RadeonOpenCompute/llvm-project roc-6.4.0 25133 c7fe45cf4b819c5991fe208aaa96edf142730f1d)"
	.section	".note.GNU-stack","",@progbits
	.addrsig
	.addrsig_sym __hip_cuid_61d1847810dee32e
	.amdgpu_metadata
---
amdhsa.kernels:
  - .args:
      - .actual_access:  read_only
        .address_space:  global
        .offset:         0
        .size:           8
        .value_kind:     global_buffer
      - .offset:         8
        .size:           8
        .value_kind:     by_value
      - .actual_access:  read_only
        .address_space:  global
        .offset:         16
        .size:           8
        .value_kind:     global_buffer
      - .actual_access:  read_only
        .address_space:  global
        .offset:         24
        .size:           8
        .value_kind:     global_buffer
      - .actual_access:  read_only
        .address_space:  global
        .offset:         32
        .size:           8
        .value_kind:     global_buffer
      - .offset:         40
        .size:           8
        .value_kind:     by_value
      - .actual_access:  read_only
        .address_space:  global
        .offset:         48
        .size:           8
        .value_kind:     global_buffer
      - .actual_access:  read_only
        .address_space:  global
        .offset:         56
        .size:           8
        .value_kind:     global_buffer
      - .offset:         64
        .size:           4
        .value_kind:     by_value
      - .actual_access:  read_only
        .address_space:  global
        .offset:         72
        .size:           8
        .value_kind:     global_buffer
      - .actual_access:  read_only
        .address_space:  global
        .offset:         80
        .size:           8
        .value_kind:     global_buffer
      - .actual_access:  read_only
        .address_space:  global
        .offset:         88
        .size:           8
        .value_kind:     global_buffer
      - .actual_access:  write_only
        .address_space:  global
        .offset:         96
        .size:           8
        .value_kind:     global_buffer
    .group_segment_fixed_size: 0
    .kernarg_segment_align: 8
    .kernarg_segment_size: 104
    .language:       OpenCL C
    .language_version:
      - 2
      - 0
    .max_flat_workgroup_size: 52
    .name:           fft_rtc_fwd_len182_factors_13_2_7_wgs_52_tpt_13_dp_op_CI_CI_unitstride_sbrr_C2R_dirReg
    .private_segment_fixed_size: 144
    .sgpr_count:     48
    .sgpr_spill_count: 0
    .symbol:         fft_rtc_fwd_len182_factors_13_2_7_wgs_52_tpt_13_dp_op_CI_CI_unitstride_sbrr_C2R_dirReg.kd
    .uniform_work_group_size: 1
    .uses_dynamic_stack: false
    .vgpr_count:     256
    .vgpr_spill_count: 37
    .wavefront_size: 32
    .workgroup_processor_mode: 1
amdhsa.target:   amdgcn-amd-amdhsa--gfx1201
amdhsa.version:
  - 1
  - 2
...

	.end_amdgpu_metadata
